;; amdgpu-corpus repo=ROCm/rocFFT kind=compiled arch=gfx1030 opt=O3
	.text
	.amdgcn_target "amdgcn-amd-amdhsa--gfx1030"
	.amdhsa_code_object_version 6
	.protected	bluestein_single_back_len1014_dim1_sp_op_CI_CI ; -- Begin function bluestein_single_back_len1014_dim1_sp_op_CI_CI
	.globl	bluestein_single_back_len1014_dim1_sp_op_CI_CI
	.p2align	8
	.type	bluestein_single_back_len1014_dim1_sp_op_CI_CI,@function
bluestein_single_back_len1014_dim1_sp_op_CI_CI: ; @bluestein_single_back_len1014_dim1_sp_op_CI_CI
; %bb.0:
	s_load_dwordx4 s[12:15], s[4:5], 0x28
	v_mul_u32_u24_e32 v1, 0x349, v0
	v_mov_b32_e32 v95, 0
	s_mov_b32 s0, exec_lo
	v_lshrrev_b32_e32 v1, 16, v1
	v_lshl_add_u32 v94, s6, 1, v1
	s_waitcnt lgkmcnt(0)
	v_cmpx_gt_u64_e64 s[12:13], v[94:95]
	s_cbranch_execz .LBB0_10
; %bb.1:
	s_clause 0x1
	s_load_dwordx4 s[8:11], s[4:5], 0x18
	s_load_dwordx4 s[0:3], s[4:5], 0x0
	v_mul_lo_u16 v2, 0x4e, v1
	s_load_dwordx2 s[4:5], s[4:5], 0x38
	v_sub_nc_u16 v22, v0, v2
	v_and_b32_e32 v117, 0xffff, v22
	v_lshlrev_b32_e32 v33, 3, v117
	s_waitcnt lgkmcnt(0)
	s_load_dwordx4 s[16:19], s[8:9], 0x0
	s_clause 0x3
	global_load_dwordx2 v[107:108], v33, s[0:1]
	global_load_dwordx2 v[99:100], v33, s[0:1] offset:624
	global_load_dwordx2 v[101:102], v33, s[0:1] offset:1248
	global_load_dwordx2 v[97:98], v33, s[0:1] offset:1872
	v_add_co_u32 v66, s6, s0, v33
	v_add_co_ci_u32_e64 v67, null, s1, 0, s6
	s_waitcnt lgkmcnt(0)
	v_mad_u64_u32 v[2:3], null, s18, v94, 0
	v_mad_u64_u32 v[4:5], null, s16, v117, 0
	s_mul_i32 s0, s17, 0x270
	s_mul_hi_u32 s1, s16, 0x270
	s_mul_i32 s6, s16, 0x270
	s_add_i32 s1, s1, s0
	v_mov_b32_e32 v0, v3
	v_mov_b32_e32 v3, v5
	v_mad_u64_u32 v[5:6], null, s19, v94, v[0:1]
	v_mad_u64_u32 v[8:9], null, s17, v117, v[3:4]
	v_add_co_u32 v6, vcc_lo, 0x800, v66
	v_add_co_ci_u32_e32 v7, vcc_lo, 0, v67, vcc_lo
	v_mov_b32_e32 v3, v5
	v_add_co_u32 v9, vcc_lo, 0x1000, v66
	v_mov_b32_e32 v5, v8
	v_add_co_ci_u32_e32 v10, vcc_lo, 0, v67, vcc_lo
	v_lshlrev_b64 v[2:3], 3, v[2:3]
	v_add_co_u32 v64, vcc_lo, 0x1800, v66
	v_add_co_ci_u32_e32 v65, vcc_lo, 0, v67, vcc_lo
	v_lshlrev_b64 v[4:5], 3, v[4:5]
	v_add_co_u32 v0, vcc_lo, s14, v2
	v_add_co_ci_u32_e32 v3, vcc_lo, s15, v3, vcc_lo
	s_clause 0x2
	global_load_dwordx2 v[109:110], v[6:7], off offset:448
	global_load_dwordx2 v[105:106], v[6:7], off offset:1072
	;; [unrolled: 1-line block ×3, first 2 shown]
	v_add_co_u32 v2, vcc_lo, v0, v4
	v_add_co_ci_u32_e32 v3, vcc_lo, v3, v5, vcc_lo
	s_clause 0x2
	global_load_dwordx2 v[95:96], v[9:10], off offset:272
	global_load_dwordx2 v[88:89], v[9:10], off offset:896
	global_load_dwordx2 v[86:87], v[9:10], off offset:1520
	v_add_co_u32 v4, vcc_lo, v2, s6
	v_add_co_ci_u32_e32 v5, vcc_lo, s1, v3, vcc_lo
	global_load_dwordx2 v[2:3], v[2:3], off
	v_add_co_u32 v6, vcc_lo, v4, s6
	v_add_co_ci_u32_e32 v7, vcc_lo, s1, v5, vcc_lo
	global_load_dwordx2 v[4:5], v[4:5], off
	v_add_co_u32 v8, vcc_lo, v6, s6
	v_add_co_ci_u32_e32 v9, vcc_lo, s1, v7, vcc_lo
	global_load_dwordx2 v[84:85], v[64:65], off offset:96
	v_add_co_u32 v10, vcc_lo, v8, s6
	v_add_co_ci_u32_e32 v11, vcc_lo, s1, v9, vcc_lo
	v_and_b32_e32 v0, 1, v1
	v_add_co_u32 v12, vcc_lo, v10, s6
	v_add_co_ci_u32_e32 v13, vcc_lo, s1, v11, vcc_lo
	s_clause 0x2
	global_load_dwordx2 v[6:7], v[6:7], off
	global_load_dwordx2 v[8:9], v[8:9], off
	global_load_dwordx2 v[10:11], v[10:11], off
	v_add_co_u32 v14, vcc_lo, v12, s6
	v_add_co_ci_u32_e32 v15, vcc_lo, s1, v13, vcc_lo
	global_load_dwordx2 v[12:13], v[12:13], off
	v_add_co_u32 v16, vcc_lo, v14, s6
	v_add_co_ci_u32_e32 v17, vcc_lo, s1, v15, vcc_lo
	global_load_dwordx2 v[14:15], v[14:15], off
	;; [unrolled: 3-line block ×7, first 2 shown]
	s_clause 0x1
	global_load_dwordx2 v[90:91], v[64:65], off offset:720
	global_load_dwordx2 v[92:93], v[64:65], off offset:1344
	global_load_dwordx2 v[31:32], v[23:24], off
	v_cmp_eq_u32_e32 vcc_lo, 1, v0
	s_load_dwordx4 s[8:11], s[10:11], 0x0
	v_cndmask_b32_e64 v119, 0, 0x1fb0, vcc_lo
	v_cmp_gt_u16_e32 vcc_lo, 13, v22
	v_add_nc_u32_e32 v118, v119, v33
	v_add_nc_u32_e32 v26, 0x800, v118
	;; [unrolled: 1-line block ×5, first 2 shown]
	s_waitcnt vmcnt(15)
	v_mul_f32_e32 v0, v3, v108
	v_mul_f32_e32 v1, v2, v108
	s_waitcnt vmcnt(14)
	v_mul_f32_e32 v33, v5, v100
	v_fmac_f32_e32 v0, v2, v107
	v_fma_f32 v1, v3, v107, -v1
	v_mul_f32_e32 v3, v4, v100
	v_fmac_f32_e32 v33, v4, v99
	v_fma_f32 v34, v5, v99, -v3
	ds_write2_b64 v118, v[0:1], v[33:34] offset1:78
	s_waitcnt vmcnt(12)
	v_mul_f32_e32 v2, v7, v102
	v_mul_f32_e32 v35, v6, v102
	s_waitcnt vmcnt(11)
	v_mul_f32_e32 v4, v9, v98
	v_mul_f32_e32 v36, v8, v98
	v_fmac_f32_e32 v2, v6, v101
	v_fma_f32 v3, v7, v101, -v35
	v_fmac_f32_e32 v4, v8, v97
	v_fma_f32 v5, v9, v97, -v36
	s_waitcnt vmcnt(10)
	v_mul_f32_e32 v6, v11, v110
	v_mul_f32_e32 v7, v10, v110
	s_waitcnt vmcnt(9)
	v_mul_f32_e32 v0, v13, v106
	v_mul_f32_e32 v1, v12, v106
	ds_write2_b64 v118, v[2:3], v[4:5] offset0:156 offset1:234
	s_waitcnt vmcnt(8)
	v_mul_f32_e32 v2, v15, v104
	v_mul_f32_e32 v3, v14, v104
	s_waitcnt vmcnt(7)
	v_mul_f32_e32 v4, v17, v96
	v_mul_f32_e32 v5, v16, v96
	v_fmac_f32_e32 v6, v10, v109
	v_fma_f32 v7, v11, v109, -v7
	v_fmac_f32_e32 v0, v12, v105
	s_waitcnt vmcnt(6)
	v_mul_f32_e32 v8, v19, v89
	v_mul_f32_e32 v9, v18, v89
	v_fma_f32 v1, v13, v105, -v1
	v_fmac_f32_e32 v2, v14, v103
	v_fma_f32 v3, v15, v103, -v3
	s_waitcnt vmcnt(5)
	v_mul_f32_e32 v10, v21, v87
	v_mul_f32_e32 v11, v20, v87
	v_fmac_f32_e32 v4, v16, v95
	v_fma_f32 v5, v17, v95, -v5
	v_fmac_f32_e32 v8, v18, v88
	s_waitcnt vmcnt(4)
	v_mul_f32_e32 v12, v28, v85
	v_mul_f32_e32 v13, v27, v85
	v_fma_f32 v9, v19, v88, -v9
	s_waitcnt vmcnt(2)
	v_mul_f32_e32 v14, v30, v91
	v_mul_f32_e32 v15, v29, v91
	s_waitcnt vmcnt(0)
	v_mul_f32_e32 v16, v32, v93
	v_mul_f32_e32 v17, v31, v93
	v_fmac_f32_e32 v10, v20, v86
	v_fma_f32 v11, v21, v86, -v11
	v_fmac_f32_e32 v12, v27, v84
	v_fma_f32 v13, v28, v84, -v13
	v_fmac_f32_e32 v14, v29, v90
	v_fma_f32 v15, v30, v90, -v15
	v_fmac_f32_e32 v16, v31, v92
	v_fma_f32 v17, v32, v92, -v17
	ds_write2_b64 v26, v[6:7], v[0:1] offset0:56 offset1:134
	ds_write2_b64 v23, v[2:3], v[4:5] offset0:84 offset1:162
	;; [unrolled: 1-line block ×4, first 2 shown]
	ds_write_b64 v118, v[16:17] offset:7488
	s_waitcnt lgkmcnt(0)
	s_barrier
	buffer_gl0_inv
	ds_read2_b64 v[4:7], v118 offset1:78
	ds_read_b64 v[20:21], v118 offset:7488
	ds_read2_b64 v[8:11], v26 offset0:56 offset1:134
	ds_read2_b64 v[0:3], v25 offset0:112 offset1:190
	;; [unrolled: 1-line block ×5, first 2 shown]
	s_waitcnt lgkmcnt(0)
	s_barrier
	buffer_gl0_inv
	v_add_f32_e32 v32, v5, v7
	v_add_f32_e32 v31, v4, v6
	;; [unrolled: 1-line block ×4, first 2 shown]
	v_sub_f32_e32 v6, v6, v20
	v_sub_f32_e32 v7, v7, v21
	v_add_f32_e32 v44, v19, v13
	v_sub_f32_e32 v46, v13, v19
	v_add_f32_e32 v13, v32, v13
	v_sub_f32_e32 v37, v8, v2
	v_sub_f32_e32 v38, v9, v3
	;; [unrolled: 1-line block ×4, first 2 shown]
	v_add_f32_e32 v43, v18, v12
	v_sub_f32_e32 v45, v12, v18
	v_sub_f32_e32 v49, v14, v16
	;; [unrolled: 1-line block ×3, first 2 shown]
	v_add_f32_e32 v12, v31, v12
	v_mul_f32_e32 v31, 0xbeedf032, v7
	v_mul_f32_e32 v32, 0xbeedf032, v6
	;; [unrolled: 1-line block ×11, first 2 shown]
	v_add_f32_e32 v13, v13, v15
	v_add_f32_e32 v35, v2, v8
	;; [unrolled: 1-line block ×7, first 2 shown]
	v_mul_f32_e32 v6, 0xbe750f2a, v6
	v_mul_f32_e32 v62, 0xbf52af12, v46
	;; [unrolled: 1-line block ×49, first 2 shown]
	v_fma_f32 v137, 0x3f62ad3f, v33, -v31
	v_fmamk_f32 v138, v34, 0x3f62ad3f, v32
	v_fmac_f32_e32 v31, 0x3f62ad3f, v33
	v_fma_f32 v139, 0x3f116cb1, v33, -v54
	v_fmamk_f32 v140, v34, 0x3f116cb1, v55
	v_fmac_f32_e32 v54, 0x3f116cb1, v33
	;; [unrolled: 3-line block ×5, first 2 shown]
	v_fma_f32 v147, 0xbf788fa5, v33, -v7
	v_fmac_f32_e32 v7, 0xbf788fa5, v33
	v_add_f32_e32 v12, v12, v14
	v_add_f32_e32 v9, v13, v9
	v_fma_f32 v32, 0x3f62ad3f, v34, -v32
	v_fma_f32 v55, 0x3f116cb1, v34, -v55
	;; [unrolled: 1-line block ×5, first 2 shown]
	v_fmamk_f32 v33, v34, 0xbf788fa5, v6
	v_fma_f32 v6, 0xbf788fa5, v34, -v6
	v_fma_f32 v14, 0x3f116cb1, v43, -v62
	v_fmac_f32_e32 v62, 0x3f116cb1, v43
	v_fma_f32 v15, 0xbeb58ec6, v43, -v63
	v_fmac_f32_e32 v63, 0xbeb58ec6, v43
	v_fma_f32 v34, 0xbf788fa5, v43, -v68
	v_fmac_f32_e32 v68, 0xbf788fa5, v43
	v_fma_f32 v148, 0xbf3f9e67, v43, -v69
	v_fmac_f32_e32 v69, 0xbf3f9e67, v43
	v_fma_f32 v149, 0x3df6dbef, v43, -v70
	v_fmac_f32_e32 v70, 0x3df6dbef, v43
	v_fma_f32 v150, 0x3f62ad3f, v43, -v46
	v_fmac_f32_e32 v46, 0x3f62ad3f, v43
	v_fmamk_f32 v43, v44, 0x3f116cb1, v71
	v_fma_f32 v71, 0x3f116cb1, v44, -v71
	v_fmamk_f32 v151, v44, 0xbeb58ec6, v72
	v_fma_f32 v72, 0xbeb58ec6, v44, -v72
	v_fmamk_f32 v152, v44, 0xbf788fa5, v73
	v_fma_f32 v73, 0xbf788fa5, v44, -v73
	v_fmamk_f32 v153, v44, 0xbf3f9e67, v74
	v_fma_f32 v74, 0xbf3f9e67, v44, -v74
	v_fmamk_f32 v154, v44, 0x3df6dbef, v75
	v_fma_f32 v75, 0x3df6dbef, v44, -v75
	v_fmamk_f32 v155, v44, 0x3f62ad3f, v45
	v_fma_f32 v44, 0x3f62ad3f, v44, -v45
	v_fma_f32 v45, 0x3df6dbef, v47, -v76
	v_fmac_f32_e32 v76, 0x3df6dbef, v47
	v_fma_f32 v156, 0xbf788fa5, v47, -v77
	v_fmac_f32_e32 v77, 0xbf788fa5, v47
	v_fma_f32 v157, 0xbeb58ec6, v47, -v78
	v_fmac_f32_e32 v78, 0xbeb58ec6, v47
	v_fma_f32 v158, 0x3f62ad3f, v47, -v79
	v_fmac_f32_e32 v79, 0x3f62ad3f, v47
	v_fma_f32 v159, 0x3f116cb1, v47, -v80
	v_fmac_f32_e32 v80, 0x3f116cb1, v47
	v_fma_f32 v160, 0xbf3f9e67, v47, -v50
	v_fmac_f32_e32 v50, 0xbf3f9e67, v47
	v_fmamk_f32 v47, v48, 0x3df6dbef, v81
	v_fma_f32 v81, 0x3df6dbef, v48, -v81
	v_fmamk_f32 v161, v48, 0xbf788fa5, v82
	v_fma_f32 v82, 0xbf788fa5, v48, -v82
	v_fmamk_f32 v162, v48, 0xbeb58ec6, v83
	v_fma_f32 v83, 0xbeb58ec6, v48, -v83
	v_fmamk_f32 v163, v48, 0x3f62ad3f, v111
	v_fma_f32 v111, 0x3f62ad3f, v48, -v111
	v_fmamk_f32 v164, v48, 0x3f116cb1, v112
	v_fma_f32 v112, 0x3f116cb1, v48, -v112
	;; [unrolled: 24-line block ×4, first 2 shown]
	v_fmamk_f32 v185, v40, 0xbeb58ec6, v41
	v_fma_f32 v40, 0xbeb58ec6, v40, -v41
	v_add_f32_e32 v41, v4, v137
	v_add_f32_e32 v137, v5, v138
	;; [unrolled: 1-line block ×29, first 2 shown]
	v_sub_f32_e32 v51, v28, v30
	v_add_f32_e32 v9, v43, v137
	v_add_f32_e32 v6, v6, v27
	;; [unrolled: 1-line block ×11, first 2 shown]
	v_sub_f32_e32 v53, v27, v29
	v_mul_f32_e32 v136, 0xbe750f2a, v51
	v_add_f32_e32 v10, v62, v31
	v_add_f32_e32 v13, v15, v138
	;; [unrolled: 1-line block ×24, first 2 shown]
	v_fma_f32 v2, 0xbf788fa5, v52, -v136
	v_add_f32_e32 v28, v30, v28
	v_mul_f32_e32 v3, 0xbe750f2a, v53
	v_add_f32_e32 v15, v63, v54
	v_add_f32_e32 v27, v82, v31
	v_add_f32_e32 v4, v38, v4
	v_add_f32_e32 v34, v68, v56
	v_add_f32_e32 v41, v73, v57
	v_add_f32_e32 v31, v157, v32
	v_add_f32_e32 v32, v162, v33
	v_add_f32_e32 v10, v113, v10
	v_add_f32_e32 v13, v166, v13
	v_add_f32_e32 v14, v171, v14
	v_add_f32_e32 v7, v39, v9
	v_add_f32_e32 v9, v131, v11
	v_add_f32_e32 v0, v0, v16
	v_add_f32_e32 v1, v1, v19
	v_add_f32_e32 v38, v185, v12
	v_add_f32_e32 v39, v40, v5
	v_add_f32_e32 v2, v2, v6
	v_mul_f32_e32 v6, 0x3eedf032, v51
	v_fma_f32 v5, 0xbf788fa5, v28, -v3
	v_mul_f32_e32 v12, 0x3eedf032, v53
	v_add_f32_e32 v43, v148, v142
	v_add_f32_e32 v15, v77, v15
	v_add_f32_e32 v27, v122, v27
	v_add_f32_e32 v30, v42, v4
	v_fmamk_f32 v4, v28, 0xbf788fa5, v3
	v_add_f32_e32 v54, v153, v143
	v_add_f32_e32 v55, v69, v58
	;; [unrolled: 1-line block ×14, first 2 shown]
	v_fma_f32 v18, 0x3f62ad3f, v52, -v6
	v_add_f32_e32 v21, v5, v9
	v_fmamk_f32 v5, v28, 0x3f62ad3f, v12
	v_mul_f32_e32 v9, 0xbf29c268, v53
	v_add_f32_e32 v41, v158, v43
	v_add_f32_e32 v15, v114, v15
	;; [unrolled: 1-line block ×4, first 2 shown]
	v_fma_f32 v7, 0x3f62ad3f, v28, -v12
	v_add_f32_e32 v59, v70, v60
	v_add_f32_e32 v60, v75, v61
	;; [unrolled: 1-line block ×10, first 2 shown]
	v_fmac_f32_e32 v136, 0xbf788fa5, v52
	v_add_f32_e32 v4, v18, v10
	v_mul_f32_e32 v10, 0xbf29c268, v51
	v_add_f32_e32 v5, v5, v11
	v_fmamk_f32 v11, v28, 0xbf3f9e67, v9
	v_add_f32_e32 v34, v168, v41
	v_add_f32_e32 v13, v127, v15
	v_fmac_f32_e32 v6, 0x3f62ad3f, v52
	v_add_f32_e32 v7, v7, v14
	v_mul_f32_e32 v14, 0x3f52af12, v51
	v_add_f32_e32 v61, v150, v146
	v_add_f32_e32 v55, v112, v60
	;; [unrolled: 1-line block ×12, first 2 shown]
	v_fma_f32 v8, 0xbf3f9e67, v52, -v10
	v_fmac_f32_e32 v10, 0xbf3f9e67, v52
	v_fma_f32 v12, 0xbf3f9e67, v28, -v9
	v_add_f32_e32 v9, v11, v27
	v_mul_f32_e32 v18, 0xbf6f5d39, v51
	v_mul_f32_e32 v27, 0xbf6f5d39, v53
	v_add_f32_e32 v32, v178, v34
	v_add_f32_e32 v6, v6, v13
	v_fma_f32 v13, 0x3f116cb1, v52, -v14
	v_add_f32_e32 v56, v160, v61
	v_add_f32_e32 v47, v125, v55
	;; [unrolled: 1-line block ×5, first 2 shown]
	v_mul_f32_e32 v15, 0x3f52af12, v53
	v_add_f32_e32 v10, v10, v29
	v_add_f32_e32 v11, v12, v31
	v_fma_f32 v29, 0xbeb58ec6, v52, -v18
	v_fmamk_f32 v31, v28, 0xbeb58ec6, v27
	v_add_f32_e32 v54, v80, v59
	v_add_f32_e32 v12, v13, v32
	v_mul_lo_u16 v32, v22, 13
	v_add_f32_e32 v48, v170, v56
	v_add_f32_e32 v33, v183, v35
	;; [unrolled: 1-line block ×3, first 2 shown]
	v_fmamk_f32 v13, v28, 0x3f116cb1, v15
	v_add_f32_e32 v16, v29, v16
	v_add_f32_e32 v17, v31, v17
	v_fma_f32 v27, 0xbeb58ec6, v28, -v27
	v_mul_f32_e32 v29, 0x3f7e222b, v51
	v_mul_f32_e32 v31, 0x3f7e222b, v53
	v_add_f32_e32 v46, v120, v54
	v_and_b32_e32 v32, 0xffff, v32
	v_add_f32_e32 v37, v180, v48
	v_add_f32_e32 v13, v13, v33
	;; [unrolled: 1-line block ×3, first 2 shown]
	v_fma_f32 v27, 0x3df6dbef, v52, -v29
	v_fmamk_f32 v33, v28, 0x3df6dbef, v31
	v_fmac_f32_e32 v29, 0x3df6dbef, v52
	v_fma_f32 v31, 0x3df6dbef, v28, -v31
	v_add_f32_e32 v34, v129, v41
	v_add_f32_e32 v35, v134, v43
	;; [unrolled: 1-line block ×3, first 2 shown]
	v_fmac_f32_e32 v14, 0x3f116cb1, v52
	v_fma_f32 v15, 0x3f116cb1, v28, -v15
	v_fmac_f32_e32 v18, 0xbeb58ec6, v52
	v_lshl_add_u32 v72, v32, 3, v119
	v_add_f32_e32 v27, v27, v37
	v_add_f32_e32 v28, v33, v38
	;; [unrolled: 1-line block ×7, first 2 shown]
	ds_write2_b64 v72, v[0:1], v[2:3] offset1:1
	ds_write2_b64 v72, v[4:5], v[8:9] offset0:2 offset1:3
	ds_write2_b64 v72, v[12:13], v[16:17] offset0:4 offset1:5
	;; [unrolled: 1-line block ×5, first 2 shown]
	ds_write_b64 v72, v[20:21] offset:96
	s_waitcnt lgkmcnt(0)
	s_barrier
	buffer_gl0_inv
	ds_read2_b64 v[28:31], v118 offset1:78
	ds_read2_b64 v[32:35], v118 offset0:169 offset1:247
	ds_read2_b64 v[36:39], v26 offset0:82 offset1:160
	;; [unrolled: 1-line block ×5, first 2 shown]
                                        ; implicit-def: $vgpr52
                                        ; implicit-def: $vgpr56
	s_and_saveexec_b32 s0, vcc_lo
	s_cbranch_execz .LBB0_3
; %bb.2:
	v_add_nc_u32_e32 v0, 0x400, v118
	v_add_nc_u32_e32 v1, 0xe00, v118
	ds_read2_b64 v[20:23], v0 offset0:28 offset1:197
	ds_read2_b64 v[52:55], v1 offset0:46 offset1:215
	;; [unrolled: 1-line block ×3, first 2 shown]
.LBB0_3:
	s_or_b32 exec_lo, exec_lo, s0
	v_and_b32_e32 v0, 0xff, v117
	v_add_nc_u16 v2, v117, 0x4e
	v_add_nc_u16 v3, v117, 0x9c
	v_mul_lo_u16 v0, 0x4f, v0
	v_and_b32_e32 v1, 0xff, v2
	v_and_b32_e32 v4, 0xff, v3
	v_lshrrev_b16 v62, 10, v0
	v_mul_lo_u16 v1, 0x4f, v1
	v_mul_lo_u16 v4, 0x4f, v4
	;; [unrolled: 1-line block ×3, first 2 shown]
	v_lshrrev_b16 v68, 10, v1
	v_lshrrev_b16 v4, 10, v4
	v_sub_nc_u16 v0, v117, v0
	v_mul_lo_u16 v5, v68, 13
	v_mul_lo_u16 v4, v4, 13
	v_and_b32_e32 v63, 0xff, v0
	v_sub_nc_u16 v2, v2, v5
	v_mad_u64_u32 v[0:1], null, v63, 40, s[2:3]
	v_and_b32_e32 v69, 0xff, v2
	v_sub_nc_u16 v2, v3, v4
	v_and_b32_e32 v120, 0xff, v2
	s_clause 0x2
	global_load_dwordx4 v[24:27], v[0:1], off
	global_load_dwordx4 v[16:19], v[0:1], off offset:16
	global_load_dwordx2 v[115:116], v[0:1], off offset:32
	v_mad_u64_u32 v[0:1], null, v69, 40, s[2:3]
	v_mad_u64_u32 v[60:61], null, v120, 40, s[2:3]
	s_clause 0x5
	global_load_dwordx4 v[12:15], v[0:1], off
	global_load_dwordx4 v[8:11], v[0:1], off offset:16
	global_load_dwordx2 v[113:114], v[0:1], off offset:32
	global_load_dwordx4 v[4:7], v[60:61], off
	global_load_dwordx4 v[0:3], v[60:61], off offset:16
	global_load_dwordx2 v[111:112], v[60:61], off offset:32
	v_mov_b32_e32 v60, 0x4e
	s_waitcnt vmcnt(0) lgkmcnt(0)
	s_barrier
	buffer_gl0_inv
	v_mul_u32_u24_sdwa v61, v62, v60 dst_sel:DWORD dst_unused:UNUSED_PAD src0_sel:WORD_0 src1_sel:DWORD
	v_mul_u32_u24_sdwa v60, v68, v60 dst_sel:DWORD dst_unused:UNUSED_PAD src0_sel:WORD_0 src1_sel:DWORD
	v_add_nc_u32_e32 v61, v61, v63
	v_add_nc_u32_e32 v60, v60, v69
	v_lshl_add_u32 v122, v61, 3, v119
	v_lshl_add_u32 v121, v60, 3, v119
	v_mul_f32_e32 v60, v33, v25
	v_mul_f32_e32 v61, v32, v25
	;; [unrolled: 1-line block ×10, first 2 shown]
	v_fma_f32 v60, v32, v24, -v60
	v_fmac_f32_e32 v61, v33, v24
	v_fma_f32 v32, v36, v26, -v62
	v_fmac_f32_e32 v63, v37, v26
	;; [unrolled: 2-line block ×5, first 2 shown]
	v_mul_f32_e32 v40, v35, v13
	v_mul_f32_e32 v48, v34, v13
	;; [unrolled: 1-line block ×20, first 2 shown]
	v_fma_f32 v124, v34, v12, -v40
	v_fmac_f32_e32 v48, v35, v12
	v_fma_f32 v34, v38, v14, -v41
	v_fmac_f32_e32 v44, v39, v14
	;; [unrolled: 2-line block ×10, first 2 shown]
	v_add_f32_e32 v43, v32, v36
	v_add_f32_e32 v46, v29, v63
	;; [unrolled: 1-line block ×7, first 2 shown]
	v_sub_f32_e32 v45, v63, v71
	v_sub_f32_e32 v53, v69, v74
	v_add_f32_e32 v54, v61, v69
	v_fma_f32 v56, -0.5, v43, v28
	v_add_f32_e32 v28, v46, v71
	v_fma_f32 v47, -0.5, v47, v29
	v_add_f32_e32 v29, v51, v37
	v_fmac_f32_e32 v60, -0.5, v52
	v_fmac_f32_e32 v61, -0.5, v55
	v_sub_f32_e32 v46, v44, v68
	v_add_f32_e32 v51, v31, v44
	v_add_f32_e32 v44, v44, v68
	v_add_f32_e32 v55, v35, v39
	v_sub_f32_e32 v57, v49, v73
	v_add_f32_e32 v58, v48, v49
	v_add_f32_e32 v49, v49, v73
	v_add_f32_e32 v63, v22, v40
	;; [unrolled: 4-line block ×3, first 2 shown]
	v_sub_f32_e32 v78, v80, v123
	v_add_f32_e32 v79, v76, v80
	v_add_f32_e32 v80, v80, v123
	v_sub_f32_e32 v32, v32, v36
	v_sub_f32_e32 v33, v33, v37
	v_add_f32_e32 v36, v42, v36
	v_add_f32_e32 v37, v54, v74
	;; [unrolled: 1-line block ×3, first 2 shown]
	v_sub_f32_e32 v52, v34, v38
	v_add_f32_e32 v54, v124, v35
	v_sub_f32_e32 v59, v35, v39
	v_add_f32_e32 v62, v20, v22
	v_add_f32_e32 v75, v50, v23
	v_sub_f32_e32 v81, v23, v41
	v_fmamk_f32 v125, v53, 0x3f5db3d7, v60
	v_fmac_f32_e32 v31, -0.5, v44
	v_fmac_f32_e32 v124, -0.5, v55
	;; [unrolled: 1-line block ×6, first 2 shown]
	v_add_f32_e32 v43, v34, v38
	v_fmac_f32_e32 v60, 0xbf5db3d7, v53
	v_fmamk_f32 v53, v33, 0xbf5db3d7, v61
	v_fmac_f32_e32 v61, 0x3f5db3d7, v33
	v_add_f32_e32 v38, v42, v38
	v_add_f32_e32 v42, v51, v68
	;; [unrolled: 1-line block ×3, first 2 shown]
	v_mul_f32_e32 v51, 0xbf5db3d7, v125
	v_fmamk_f32 v63, v52, 0xbf5db3d7, v31
	v_fmac_f32_e32 v31, 0x3f5db3d7, v52
	v_fmamk_f32 v52, v57, 0x3f5db3d7, v124
	v_fmac_f32_e32 v124, 0xbf5db3d7, v57
	;; [unrolled: 2-line block ×6, first 2 shown]
	v_sub_f32_e32 v74, v22, v40
	v_fmac_f32_e32 v21, -0.5, v71
	v_fmamk_f32 v83, v45, 0x3f5db3d7, v56
	v_fmac_f32_e32 v56, 0xbf5db3d7, v45
	v_fmamk_f32 v45, v32, 0xbf5db3d7, v47
	v_fmac_f32_e32 v47, 0x3f5db3d7, v32
	v_add_f32_e32 v32, v36, v29
	v_add_f32_e32 v33, v28, v37
	v_sub_f32_e32 v34, v36, v29
	v_sub_f32_e32 v35, v28, v37
	v_fma_f32 v30, -0.5, v43, v30
	v_add_f32_e32 v43, v58, v73
	v_add_f32_e32 v28, v75, v41
	;; [unrolled: 1-line block ×3, first 2 shown]
	v_mul_f32_e32 v44, 0x3f5db3d7, v53
	v_mul_f32_e32 v49, -0.5, v60
	v_mul_f32_e32 v58, -0.5, v61
	v_fmac_f32_e32 v51, 0.5, v53
	v_mul_f32_e32 v53, 0x3f5db3d7, v57
	v_mul_f32_e32 v75, 0x3f5db3d7, v70
	v_mul_f32_e32 v77, -0.5, v50
	v_mul_f32_e32 v78, 0xbf5db3d7, v69
	v_mul_f32_e32 v79, -0.5, v76
	v_mul_f32_e32 v73, 0xbf5db3d7, v52
	v_fmamk_f32 v68, v74, 0xbf5db3d7, v21
	v_fmac_f32_e32 v21, 0x3f5db3d7, v74
	v_mul_f32_e32 v71, -0.5, v124
	v_mul_f32_e32 v74, -0.5, v48
	v_add_f32_e32 v39, v54, v39
	v_add_f32_e32 v22, v62, v40
	v_fmamk_f32 v62, v46, 0x3f5db3d7, v30
	v_fmac_f32_e32 v44, 0.5, v125
	v_fmac_f32_e32 v49, 0x3f5db3d7, v61
	v_fmac_f32_e32 v58, 0xbf5db3d7, v60
	v_fmac_f32_e32 v53, 0.5, v52
	v_fmac_f32_e32 v75, 0.5, v69
	v_fmac_f32_e32 v77, 0x3f5db3d7, v76
	v_fmac_f32_e32 v78, 0.5, v70
	v_fmac_f32_e32 v79, 0xbf5db3d7, v50
	;; [unrolled: 2-line block ×3, first 2 shown]
	v_fmac_f32_e32 v71, 0x3f5db3d7, v48
	v_fmac_f32_e32 v74, 0xbf5db3d7, v124
	v_add_f32_e32 v36, v38, v39
	v_add_f32_e32 v37, v42, v43
	v_sub_f32_e32 v38, v38, v39
	v_sub_f32_e32 v39, v42, v43
	;; [unrolled: 1-line block ×4, first 2 shown]
	v_add_f32_e32 v40, v83, v44
	v_add_f32_e32 v42, v56, v49
	;; [unrolled: 1-line block ×4, first 2 shown]
	v_sub_f32_e32 v46, v56, v49
	v_sub_f32_e32 v45, v45, v51
	;; [unrolled: 1-line block ×3, first 2 shown]
	v_add_f32_e32 v48, v62, v53
	v_sub_f32_e32 v62, v62, v53
	v_add_f32_e32 v50, v59, v75
	v_add_f32_e32 v52, v20, v77
	;; [unrolled: 1-line block ×4, first 2 shown]
	v_sub_f32_e32 v56, v59, v75
	v_sub_f32_e32 v58, v20, v77
	;; [unrolled: 1-line block ×5, first 2 shown]
	v_add_f32_e32 v49, v63, v73
	v_add_f32_e32 v60, v30, v71
	;; [unrolled: 1-line block ×3, first 2 shown]
	v_sub_f32_e32 v30, v30, v71
	v_sub_f32_e32 v63, v63, v73
	;; [unrolled: 1-line block ×3, first 2 shown]
	ds_write2_b64 v122, v[32:33], v[40:41] offset1:13
	ds_write2_b64 v122, v[42:43], v[34:35] offset0:26 offset1:39
	ds_write2_b64 v122, v[44:45], v[46:47] offset0:52 offset1:65
	ds_write2_b64 v121, v[36:37], v[48:49] offset1:13
	ds_write2_b64 v121, v[60:61], v[38:39] offset0:26 offset1:39
	ds_write2_b64 v121, v[62:63], v[30:31] offset0:52 offset1:65
	s_and_saveexec_b32 s0, vcc_lo
	s_cbranch_execz .LBB0_5
; %bb.4:
	v_lshl_add_u32 v30, v120, 3, v119
	v_add_f32_e32 v21, v23, v29
	v_add_f32_e32 v20, v22, v28
	v_add_nc_u32_e32 v22, 0x1800, v30
	ds_write2_b64 v22, v[20:21], v[50:51] offset0:168 offset1:181
	ds_write2_b64 v22, v[52:53], v[54:55] offset0:194 offset1:207
	;; [unrolled: 1-line block ×3, first 2 shown]
.LBB0_5:
	s_or_b32 exec_lo, exec_lo, s0
	v_mad_u64_u32 v[28:29], null, 0x60, v117, s[2:3]
	s_waitcnt lgkmcnt(0)
	s_barrier
	buffer_gl0_inv
	v_add_nc_u32_e32 v74, 0x800, v118
	v_add_nc_u32_e32 v73, 0xc00, v118
	;; [unrolled: 1-line block ×3, first 2 shown]
	s_clause 0x5
	global_load_dwordx4 v[44:47], v[28:29], off offset:520
	global_load_dwordx4 v[40:43], v[28:29], off offset:536
	global_load_dwordx4 v[32:35], v[28:29], off offset:552
	global_load_dwordx4 v[20:23], v[28:29], off offset:568
	global_load_dwordx4 v[36:39], v[28:29], off offset:584
	global_load_dwordx4 v[28:31], v[28:29], off offset:600
	ds_read2_b64 v[60:63], v118 offset1:78
	v_add_nc_u32_e32 v123, 0x1800, v118
	ds_read2_b64 v[76:79], v118 offset0:156 offset1:234
	ds_read2_b64 v[125:128], v74 offset0:56 offset1:134
	;; [unrolled: 1-line block ×5, first 2 shown]
	ds_read_b64 v[141:142], v118 offset:7488
	s_waitcnt vmcnt(5) lgkmcnt(6)
	v_mul_f32_e32 v143, v62, v45
	v_mul_f32_e32 v80, v63, v45
	s_waitcnt lgkmcnt(5)
	v_mul_f32_e32 v83, v77, v47
	v_mul_f32_e32 v144, v76, v47
	s_waitcnt vmcnt(3) lgkmcnt(4)
	v_mul_f32_e32 v148, v128, v33
	s_waitcnt vmcnt(0) lgkmcnt(0)
	v_mul_f32_e32 v155, v142, v31
	v_mul_f32_e32 v71, v141, v31
	v_fmac_f32_e32 v143, v63, v44
	v_mul_f32_e32 v146, v78, v41
	v_mul_f32_e32 v82, v125, v43
	;; [unrolled: 1-line block ×7, first 2 shown]
	v_fma_f32 v156, v62, v44, -v80
	v_fma_f32 v157, v76, v46, -v83
	v_fmac_f32_e32 v144, v77, v46
	v_fma_f32 v83, v127, v32, -v148
	v_fma_f32 v76, v141, v30, -v155
	v_fmac_f32_e32 v71, v142, v30
	v_add_f32_e32 v127, v61, v143
	v_mul_f32_e32 v145, v79, v41
	v_mul_f32_e32 v147, v126, v43
	;; [unrolled: 1-line block ×10, first 2 shown]
	v_fmac_f32_e32 v146, v79, v40
	v_fmac_f32_e32 v82, v126, v42
	;; [unrolled: 1-line block ×3, first 2 shown]
	v_fma_f32 v63, v131, v20, -v150
	v_fma_f32 v77, v139, v28, -v154
	v_fmac_f32_e32 v70, v140, v28
	v_add_f32_e32 v126, v60, v156
	v_sub_f32_e32 v130, v156, v76
	v_sub_f32_e32 v131, v143, v71
	v_add_f32_e32 v127, v127, v144
	v_fma_f32 v145, v78, v40, -v145
	v_fmac_f32_e32 v81, v128, v32
	v_fma_f32 v62, v129, v34, -v149
	v_fmac_f32_e32 v49, v132, v20
	;; [unrolled: 2-line block ×5, first 2 shown]
	v_add_f32_e32 v128, v156, v76
	v_add_f32_e32 v129, v143, v71
	;; [unrolled: 1-line block ×4, first 2 shown]
	v_sub_f32_e32 v134, v157, v77
	v_sub_f32_e32 v135, v144, v70
	v_add_f32_e32 v126, v126, v157
	v_mul_f32_e32 v144, 0xbeedf032, v131
	v_mul_f32_e32 v151, 0xbeedf032, v130
	;; [unrolled: 1-line block ×12, first 2 shown]
	v_add_f32_e32 v127, v127, v146
	v_fma_f32 v125, v125, v42, -v147
	v_add_f32_e32 v136, v145, v78
	v_add_f32_e32 v137, v146, v69
	v_sub_f32_e32 v138, v145, v78
	v_sub_f32_e32 v139, v146, v69
	v_add_f32_e32 v141, v82, v68
	v_sub_f32_e32 v143, v82, v68
	v_mul_f32_e32 v160, 0xbf52af12, v135
	v_mul_f32_e32 v161, 0xbf52af12, v134
	;; [unrolled: 1-line block ×12, first 2 shown]
	v_add_f32_e32 v126, v126, v145
	v_fma_f32 v145, 0x3f62ad3f, v128, -v144
	v_fmamk_f32 v146, v129, 0x3f62ad3f, v151
	v_fmac_f32_e32 v144, 0x3f62ad3f, v128
	v_fma_f32 v151, 0x3f62ad3f, v129, -v151
	v_fma_f32 v200, 0x3f116cb1, v128, -v152
	v_fmamk_f32 v201, v129, 0x3f116cb1, v153
	v_fmac_f32_e32 v152, 0x3f116cb1, v128
	v_fma_f32 v153, 0x3f116cb1, v129, -v153
	;; [unrolled: 4-line block ×6, first 2 shown]
	v_add_f32_e32 v82, v127, v82
	v_add_f32_e32 v140, v125, v79
	v_sub_f32_e32 v142, v125, v79
	v_add_f32_e32 v148, v81, v75
	v_sub_f32_e32 v150, v81, v75
	v_mul_f32_e32 v170, 0xbf7e222b, v139
	v_mul_f32_e32 v171, 0xbf7e222b, v138
	;; [unrolled: 1-line block ×12, first 2 shown]
	v_fma_f32 v129, 0x3f116cb1, v132, -v160
	v_fmac_f32_e32 v160, 0x3f116cb1, v132
	v_fma_f32 v210, 0xbeb58ec6, v132, -v162
	v_fmac_f32_e32 v162, 0xbeb58ec6, v132
	;; [unrolled: 2-line block ×6, first 2 shown]
	v_fma_f32 v132, 0x3f62ad3f, v133, -v134
	v_add_f32_e32 v125, v126, v125
	v_add_f32_e32 v126, v60, v145
	;; [unrolled: 1-line block ×15, first 2 shown]
	v_mul_f32_e32 v180, 0xbf6f5d39, v143
	v_mul_f32_e32 v181, 0xbf6f5d39, v142
	;; [unrolled: 1-line block ×12, first 2 shown]
	v_fmamk_f32 v130, v133, 0x3f116cb1, v161
	v_fma_f32 v161, 0x3f116cb1, v133, -v161
	v_fmamk_f32 v211, v133, 0xbeb58ec6, v163
	v_fma_f32 v163, 0xbeb58ec6, v133, -v163
	;; [unrolled: 2-line block ×6, first 2 shown]
	v_fmac_f32_e32 v170, 0x3df6dbef, v136
	v_fma_f32 v220, 0xbf788fa5, v136, -v172
	v_fmac_f32_e32 v172, 0xbf788fa5, v136
	v_fma_f32 v222, 0xbeb58ec6, v136, -v174
	;; [unrolled: 2-line block ×6, first 2 shown]
	v_add_f32_e32 v61, v132, v61
	v_add_f32_e32 v81, v81, v48
	v_fmamk_f32 v134, v137, 0x3df6dbef, v171
	v_fma_f32 v171, 0x3df6dbef, v137, -v171
	v_fmamk_f32 v221, v137, 0xbf788fa5, v173
	v_fma_f32 v173, 0xbf788fa5, v137, -v173
	;; [unrolled: 2-line block ×6, first 2 shown]
	v_fmac_f32_e32 v180, 0xbeb58ec6, v140
	v_fma_f32 v230, 0xbf3f9e67, v140, -v182
	v_fmac_f32_e32 v182, 0xbf3f9e67, v140
	v_fma_f32 v232, 0x3f62ad3f, v140, -v184
	;; [unrolled: 2-line block ×6, first 2 shown]
	v_add_f32_e32 v61, v136, v61
	v_add_f32_e32 v81, v81, v49
	;; [unrolled: 1-line block ×3, first 2 shown]
	v_sub_f32_e32 v149, v83, v80
	v_add_f32_e32 v144, v60, v144
	v_add_f32_e32 v146, v60, v200
	;; [unrolled: 1-line block ×28, first 2 shown]
	v_mul_f32_e32 v190, 0xbf29c268, v150
	v_mul_f32_e32 v191, 0xbf29c268, v149
	;; [unrolled: 1-line block ×6, first 2 shown]
	v_fmamk_f32 v138, v141, 0xbeb58ec6, v181
	v_fmamk_f32 v231, v141, 0xbf3f9e67, v183
	v_fma_f32 v183, 0xbf3f9e67, v141, -v183
	v_fmamk_f32 v233, v141, 0x3f62ad3f, v185
	v_fma_f32 v185, 0x3f62ad3f, v141, -v185
	v_fmamk_f32 v235, v141, 0x3df6dbef, v187
	v_fmamk_f32 v237, v141, 0xbf788fa5, v189
	v_add_f32_e32 v128, v210, v146
	v_add_f32_e32 v130, v162, v152
	;; [unrolled: 1-line block ×20, first 2 shown]
	v_mul_f32_e32 v192, 0x3f7e222b, v150
	v_mul_f32_e32 v194, 0xbf52af12, v150
	;; [unrolled: 1-line block ×3, first 2 shown]
	v_fma_f32 v181, 0xbeb58ec6, v141, -v181
	v_fma_f32 v187, 0x3df6dbef, v141, -v187
	;; [unrolled: 1-line block ×3, first 2 shown]
	v_fmamk_f32 v239, v141, 0x3f116cb1, v142
	v_fma_f32 v141, 0xbf3f9e67, v147, -v190
	v_fmamk_f32 v142, v148, 0xbf3f9e67, v191
	v_fmac_f32_e32 v190, 0xbf3f9e67, v147
	v_fmamk_f32 v241, v148, 0x3df6dbef, v193
	v_fma_f32 v193, 0x3df6dbef, v148, -v193
	v_fmamk_f32 v243, v148, 0x3f116cb1, v195
	v_fma_f32 v195, 0x3f116cb1, v148, -v195
	v_fmamk_f32 v245, v148, 0xbf788fa5, v197
	v_add_f32_e32 v159, v169, v159
	v_add_f32_e32 v127, v171, v127
	;; [unrolled: 1-line block ×20, first 2 shown]
	v_fmamk_f32 v69, v148, 0x3f62ad3f, v199
	v_mul_f32_e32 v70, 0xbf6f5d39, v150
	v_mul_f32_e32 v196, 0x3e750f2a, v150
	v_fma_f32 v191, 0xbf3f9e67, v148, -v191
	v_fma_f32 v240, 0x3df6dbef, v147, -v192
	;; [unrolled: 1-line block ×3, first 2 shown]
	v_fmac_f32_e32 v194, 0x3f116cb1, v147
	v_fma_f32 v197, 0xbf788fa5, v148, -v197
	v_add_f32_e32 v146, v176, v154
	v_add_f32_e32 v155, v179, v159
	;; [unrolled: 1-line block ×18, first 2 shown]
	v_fma_f32 v68, 0x3f62ad3f, v147, -v198
	v_add_f32_e32 v135, v69, v145
	v_fma_f32 v69, 0xbeb58ec6, v147, -v70
	v_mul_f32_e32 v71, 0xbf6f5d39, v149
	v_sub_f32_e32 v137, v48, v49
	v_sub_f32_e32 v142, v62, v63
	v_fma_f32 v244, 0xbf788fa5, v147, -v196
	v_fmac_f32_e32 v196, 0xbf788fa5, v147
	v_add_f32_e32 v161, v219, v207
	v_add_f32_e32 v132, v232, v132
	v_add_f32_e32 v138, v186, v146
	v_add_f32_e32 v151, v189, v155
	v_add_f32_e32 v75, v141, v82
	v_add_f32_e32 v82, v191, v127
	v_add_f32_e32 v83, v240, v128
	v_add_f32_e32 v60, v60, v78
	v_add_f32_e32 v127, v243, v133
	v_add_f32_e32 v128, v194, v134
	v_add_f32_e32 v133, v197, v139
	v_add_f32_e32 v134, v68, v144
	v_fma_f32 v68, 0x3f62ad3f, v148, -v199
	v_add_f32_e32 v139, v69, v152
	v_add_f32_e32 v141, v62, v63
	v_mul_f32_e32 v69, 0xbe750f2a, v137
	v_fma_f32 v62, 0xbeb58ec6, v148, -v71
	v_add_f32_e32 v144, v48, v49
	v_mul_f32_e32 v49, 0xbe750f2a, v142
	v_add_f32_e32 v130, v172, v130
	v_add_f32_e32 v157, v229, v161
	;; [unrolled: 1-line block ×6, first 2 shown]
	v_fmamk_f32 v68, v148, 0xbeb58ec6, v71
	v_fmac_f32_e32 v70, 0xbeb58ec6, v147
	v_fma_f32 v48, 0xbf788fa5, v141, -v69
	v_add_f32_e32 v140, v62, v140
	v_fmamk_f32 v62, v144, 0xbf788fa5, v49
	v_fmac_f32_e32 v69, 0xbf788fa5, v141
	v_mul_f32_e32 v71, 0x3eedf032, v142
	v_mul_f32_e32 v77, 0xbf29c268, v137
	v_fmac_f32_e32 v192, 0x3df6dbef, v147
	v_add_f32_e32 v158, v168, v158
	v_add_f32_e32 v130, v182, v130
	;; [unrolled: 1-line block ×6, first 2 shown]
	v_mul_f32_e32 v70, 0x3eedf032, v137
	v_fma_f32 v63, 0xbf788fa5, v144, -v49
	v_add_f32_e32 v49, v62, v80
	v_add_f32_e32 v62, v69, v81
	v_fmamk_f32 v69, v144, 0x3f62ad3f, v71
	v_fma_f32 v75, 0xbf3f9e67, v141, -v77
	v_mul_f32_e32 v76, 0xbf29c268, v142
	v_mul_f32_e32 v81, 0x3f52af12, v137
	v_add_f32_e32 v154, v178, v158
	v_add_f32_e32 v125, v192, v130
	;; [unrolled: 1-line block ×4, first 2 shown]
	v_fma_f32 v68, 0x3f62ad3f, v141, -v70
	v_add_f32_e32 v63, v63, v82
	v_add_f32_e32 v69, v69, v79
	;; [unrolled: 1-line block ×3, first 2 shown]
	v_fmamk_f32 v78, v144, 0xbf3f9e67, v76
	v_fma_f32 v79, 0xbf3f9e67, v144, -v76
	v_fma_f32 v80, 0x3f116cb1, v141, -v81
	v_mul_f32_e32 v82, 0x3f52af12, v142
	v_fmac_f32_e32 v77, 0xbf3f9e67, v141
	v_add_f32_e32 v146, v188, v154
	v_fmac_f32_e32 v198, 0x3f62ad3f, v147
	v_add_f32_e32 v68, v68, v83
	;; [unrolled: 2-line block ×3, first 2 shown]
	v_add_f32_e32 v78, v79, v129
	v_add_f32_e32 v79, v80, v130
	v_fmamk_f32 v80, v144, 0x3f116cb1, v82
	v_mul_f32_e32 v83, 0xbf6f5d39, v137
	v_fma_f32 v71, 0x3f62ad3f, v144, -v71
	v_add_f32_e32 v77, v77, v128
	v_mul_f32_e32 v128, 0xbf6f5d39, v142
	v_add_f32_e32 v136, v198, v146
	v_add_f32_e32 v70, v70, v125
	v_fmac_f32_e32 v81, 0x3f116cb1, v141
	v_add_f32_e32 v80, v80, v131
	v_fma_f32 v125, 0xbeb58ec6, v141, -v83
	v_fmac_f32_e32 v83, 0xbeb58ec6, v141
	v_mul_f32_e32 v131, 0x3f7e222b, v137
	v_mul_f32_e32 v129, 0x3f7e222b, v142
	v_add_f32_e32 v71, v71, v126
	v_fmamk_f32 v126, v144, 0xbeb58ec6, v128
	v_add_f32_e32 v81, v81, v132
	v_add_f32_e32 v127, v83, v136
	v_fma_f32 v83, 0x3df6dbef, v141, -v131
	v_fmamk_f32 v130, v144, 0x3df6dbef, v129
	v_fmac_f32_e32 v131, 0x3df6dbef, v141
	v_fma_f32 v132, 0x3df6dbef, v144, -v129
	v_fma_f32 v82, 0x3f116cb1, v144, -v82
	;; [unrolled: 1-line block ×3, first 2 shown]
	v_add_f32_e32 v125, v125, v134
	v_add_f32_e32 v126, v126, v135
	;; [unrolled: 1-line block ×8, first 2 shown]
	ds_write2_b64 v118, v[60:61], v[48:49] offset1:78
	ds_write2_b64 v118, v[68:69], v[75:76] offset0:156 offset1:234
	ds_write2_b64 v74, v[79:80], v[125:126] offset0:56 offset1:134
	;; [unrolled: 1-line block ×5, first 2 shown]
	ds_write_b64 v118, v[62:63] offset:7488
	v_add_co_u32 v48, s0, 0x1fb0, v66
	v_add_co_ci_u32_e64 v49, s0, 0, v67, s0
	v_add_co_u32 v60, s0, 0x2800, v66
	v_add_co_ci_u32_e64 v61, s0, 0, v67, s0
	;; [unrolled: 2-line block ×3, first 2 shown]
	s_waitcnt lgkmcnt(0)
	s_barrier
	buffer_gl0_inv
	s_clause 0x7
	global_load_dwordx2 v[129:130], v[64:65], off offset:1968
	global_load_dwordx2 v[131:132], v[48:49], off offset:624
	global_load_dwordx2 v[133:134], v[48:49], off offset:1248
	global_load_dwordx2 v[48:49], v[48:49], off offset:1872
	global_load_dwordx2 v[135:136], v[60:61], off offset:368
	global_load_dwordx2 v[137:138], v[60:61], off offset:992
	global_load_dwordx2 v[139:140], v[60:61], off offset:1616
	global_load_dwordx2 v[141:142], v[62:63], off offset:192
	v_add_co_u32 v60, s0, 0x3800, v66
	v_add_co_ci_u32_e64 v61, s0, 0, v67, s0
	s_clause 0x4
	global_load_dwordx2 v[143:144], v[62:63], off offset:816
	global_load_dwordx2 v[145:146], v[62:63], off offset:1440
	;; [unrolled: 1-line block ×5, first 2 shown]
	ds_read2_b64 v[60:63], v118 offset1:78
	ds_read2_b64 v[64:67], v118 offset0:156 offset1:234
	ds_read2_b64 v[68:71], v74 offset0:56 offset1:134
	ds_read2_b64 v[75:78], v73 offset0:84 offset1:162
	ds_read2_b64 v[79:82], v124 offset0:112 offset1:190
	ds_read2_b64 v[125:128], v123 offset0:12 offset1:90
	ds_read_b64 v[153:154], v118 offset:7488
	s_waitcnt vmcnt(12) lgkmcnt(6)
	v_mul_f32_e32 v155, v61, v130
	v_mul_f32_e32 v156, v60, v130
	s_waitcnt vmcnt(11)
	v_mul_f32_e32 v157, v63, v132
	v_mul_f32_e32 v130, v62, v132
	s_waitcnt vmcnt(10) lgkmcnt(5)
	v_mul_f32_e32 v158, v65, v134
	v_mul_f32_e32 v132, v64, v134
	s_waitcnt vmcnt(9)
	v_mul_f32_e32 v159, v67, v49
	v_mul_f32_e32 v134, v66, v49
	;; [unrolled: 6-line block ×6, first 2 shown]
	s_waitcnt vmcnt(0) lgkmcnt(0)
	v_mul_f32_e32 v150, v154, v152
	v_mul_f32_e32 v148, v153, v152
	v_fma_f32 v155, v60, v129, -v155
	v_fmac_f32_e32 v156, v61, v129
	v_fma_f32 v129, v62, v131, -v157
	v_fmac_f32_e32 v130, v63, v131
	;; [unrolled: 2-line block ×13, first 2 shown]
	ds_write2_b64 v118, v[155:156], v[129:130] offset1:78
	ds_write2_b64 v118, v[131:132], v[133:134] offset0:156 offset1:234
	ds_write2_b64 v74, v[48:49], v[135:136] offset0:56 offset1:134
	;; [unrolled: 1-line block ×5, first 2 shown]
	ds_write_b64 v118, v[147:148] offset:7488
	s_waitcnt lgkmcnt(0)
	s_barrier
	buffer_gl0_inv
	ds_read2_b64 v[75:78], v118 offset1:78
	ds_read_b64 v[48:49], v118 offset:7488
	ds_read2_b64 v[79:82], v118 offset0:156 offset1:234
	ds_read2_b64 v[125:128], v123 offset0:12 offset1:90
	;; [unrolled: 1-line block ×5, first 2 shown]
	s_waitcnt lgkmcnt(0)
	s_barrier
	buffer_gl0_inv
	v_add_f32_e32 v83, v75, v77
	v_add_f32_e32 v129, v76, v78
	;; [unrolled: 1-line block ×3, first 2 shown]
	v_sub_f32_e32 v78, v78, v49
	v_add_f32_e32 v132, v127, v79
	v_add_f32_e32 v133, v128, v80
	v_sub_f32_e32 v134, v79, v127
	v_sub_f32_e32 v135, v80, v128
	v_add_f32_e32 v79, v83, v79
	v_add_f32_e32 v80, v129, v80
	;; [unrolled: 1-line block ×3, first 2 shown]
	v_sub_f32_e32 v77, v77, v48
	v_mul_f32_e32 v83, 0xbeedf032, v78
	v_mul_f32_e32 v129, 0x3f62ad3f, v131
	;; [unrolled: 1-line block ×12, first 2 shown]
	v_add_f32_e32 v79, v79, v81
	v_add_f32_e32 v80, v80, v82
	;; [unrolled: 1-line block ×4, first 2 shown]
	v_sub_f32_e32 v138, v81, v125
	v_sub_f32_e32 v139, v82, v126
	v_mul_f32_e32 v150, 0x3f116cb1, v133
	v_mul_f32_e32 v152, 0xbeb58ec6, v133
	;; [unrolled: 1-line block ×6, first 2 shown]
	v_fmamk_f32 v81, v130, 0x3f62ad3f, v83
	v_fmamk_f32 v82, v77, 0x3eedf032, v129
	v_fma_f32 v83, 0x3f62ad3f, v130, -v83
	v_fmac_f32_e32 v129, 0xbeedf032, v77
	v_fmamk_f32 v169, v130, 0x3f116cb1, v141
	v_fmamk_f32 v170, v77, 0x3f52af12, v142
	v_fma_f32 v141, 0x3f116cb1, v130, -v141
	v_fmac_f32_e32 v142, 0xbf52af12, v77
	;; [unrolled: 4-line block ×6, first 2 shown]
	v_add_f32_e32 v79, v79, v64
	v_add_f32_e32 v80, v80, v65
	v_mul_f32_e32 v149, 0xbf52af12, v135
	v_mul_f32_e32 v151, 0xbf6f5d39, v135
	;; [unrolled: 1-line block ×6, first 2 shown]
	v_fmamk_f32 v188, v134, 0xbeedf032, v133
	v_fmac_f32_e32 v133, 0x3eedf032, v134
	v_add_f32_e32 v81, v75, v81
	v_add_f32_e32 v82, v76, v82
	;; [unrolled: 1-line block ×26, first 2 shown]
	v_fmamk_f32 v77, v132, 0x3f116cb1, v149
	v_fma_f32 v149, 0x3f116cb1, v132, -v149
	v_fmamk_f32 v179, v132, 0xbeb58ec6, v151
	v_fma_f32 v151, 0xbeb58ec6, v132, -v151
	;; [unrolled: 2-line block ×6, first 2 shown]
	v_add_f32_e32 v133, v133, v76
	v_add_f32_e32 v76, v79, v61
	v_mul_f32_e32 v166, 0x3f62ad3f, v137
	v_fmamk_f32 v184, v134, 0xbf29c268, v156
	v_add_f32_e32 v132, v132, v75
	v_add_f32_e32 v75, v78, v60
	;; [unrolled: 1-line block ×3, first 2 shown]
	v_fmac_f32_e32 v156, 0x3f29c268, v134
	v_sub_f32_e32 v140, v65, v71
	v_mul_f32_e32 v159, 0xbf7e222b, v139
	v_add_f32_e32 v75, v75, v62
	v_add_f32_e32 v76, v76, v69
	v_fmamk_f32 v194, v138, 0xbeedf032, v166
	v_fmac_f32_e32 v166, 0x3eedf032, v138
	v_add_f32_e32 v146, v156, v146
	v_add_f32_e32 v75, v75, v68
	v_add_f32_e32 v76, v76, v71
	v_mul_f32_e32 v160, 0x3df6dbef, v137
	v_mul_f32_e32 v161, 0xbe750f2a, v139
	;; [unrolled: 1-line block ×3, first 2 shown]
	v_add_f32_e32 v75, v75, v70
	v_add_f32_e32 v76, v76, v126
	v_mul_f32_e32 v163, 0x3f6f5d39, v139
	v_mul_f32_e32 v164, 0xbeb58ec6, v137
	;; [unrolled: 1-line block ×3, first 2 shown]
	v_add_f32_e32 v75, v75, v125
	v_add_f32_e32 v76, v76, v128
	v_mul_f32_e32 v167, 0xbf52af12, v139
	v_mul_f32_e32 v168, 0x3f116cb1, v137
	;; [unrolled: 1-line block ×4, first 2 shown]
	v_fmamk_f32 v130, v134, 0x3f52af12, v150
	v_fmac_f32_e32 v150, 0xbf52af12, v134
	v_fmamk_f32 v180, v134, 0x3f6f5d39, v152
	v_fmac_f32_e32 v152, 0xbf6f5d39, v134
	;; [unrolled: 2-line block ×4, first 2 shown]
	v_fmamk_f32 v134, v136, 0x3df6dbef, v159
	v_add_f32_e32 v77, v77, v81
	v_add_f32_e32 v125, v166, v146
	;; [unrolled: 1-line block ×5, first 2 shown]
	v_mul_f32_e32 v146, 0xbf6f5d39, v140
	v_add_f32_e32 v65, v71, v65
	v_fmamk_f32 v135, v138, 0x3f7e222b, v160
	v_fma_f32 v159, 0x3df6dbef, v136, -v159
	v_fmac_f32_e32 v160, 0xbf7e222b, v138
	v_fmamk_f32 v189, v136, 0xbf788fa5, v161
	v_fma_f32 v161, 0xbf788fa5, v136, -v161
	v_fmamk_f32 v191, v136, 0xbeb58ec6, v163
	v_fma_f32 v163, 0xbeb58ec6, v136, -v163
	;; [unrolled: 2-line block ×4, first 2 shown]
	v_fmamk_f32 v197, v136, 0xbf3f9e67, v139
	v_add_f32_e32 v80, v130, v82
	v_add_f32_e32 v81, v149, v83
	;; [unrolled: 1-line block ×5, first 2 shown]
	v_fmamk_f32 v48, v138, 0x3f29c268, v137
	v_fma_f32 v71, 0xbf3f9e67, v136, -v139
	v_fmac_f32_e32 v137, 0xbf29c268, v138
	v_sub_f32_e32 v64, v64, v70
	v_fmamk_f32 v70, v49, 0xbeb58ec6, v146
	v_mul_f32_e32 v136, 0xbeb58ec6, v65
	v_fmamk_f32 v190, v138, 0x3e750f2a, v162
	v_fmac_f32_e32 v162, 0xbe750f2a, v138
	v_fmamk_f32 v192, v138, 0xbf6f5d39, v164
	v_fmac_f32_e32 v164, 0x3f6f5d39, v138
	;; [unrolled: 2-line block ×3, first 2 shown]
	v_add_f32_e32 v83, v179, v169
	v_add_f32_e32 v129, v180, v170
	;; [unrolled: 1-line block ×8, first 2 shown]
	v_fmamk_f32 v77, v64, 0x3f6f5d39, v136
	v_mul_f32_e32 v133, 0x3f29c268, v140
	v_fma_f32 v137, 0xbeb58ec6, v49, -v146
	v_fmac_f32_e32 v136, 0xbf6f5d39, v64
	v_mul_f32_e32 v138, 0xbf3f9e67, v65
	v_add_f32_e32 v130, v151, v141
	v_add_f32_e32 v131, v152, v142
	;; [unrolled: 1-line block ×6, first 2 shown]
	v_fmamk_f32 v78, v49, 0xbf3f9e67, v133
	v_add_f32_e32 v79, v137, v79
	v_add_f32_e32 v80, v136, v80
	v_fmamk_f32 v136, v64, 0xbf29c268, v138
	v_mul_f32_e32 v137, 0x3eedf032, v140
	v_add_f32_e32 v142, v182, v172
	v_add_f32_e32 v143, v153, v143
	;; [unrolled: 1-line block ×6, first 2 shown]
	v_fma_f32 v81, 0xbf3f9e67, v49, -v133
	v_fmac_f32_e32 v138, 0x3f29c268, v64
	v_add_f32_e32 v82, v136, v82
	v_fmamk_f32 v133, v49, 0x3f62ad3f, v137
	v_mul_f32_e32 v136, 0x3f62ad3f, v65
	v_add_f32_e32 v144, v154, v144
	v_add_f32_e32 v149, v183, v173
	;; [unrolled: 1-line block ×6, first 2 shown]
	v_mul_f32_e32 v129, 0xbf7e222b, v140
	v_add_f32_e32 v130, v133, v130
	v_fmamk_f32 v133, v64, 0xbeedf032, v136
	v_fma_f32 v137, 0x3f62ad3f, v49, -v137
	v_add_f32_e32 v150, v184, v174
	v_add_f32_e32 v147, v157, v147
	v_add_f32_e32 v135, v164, v144
	v_add_f32_e32 v141, v193, v149
	v_fmac_f32_e32 v136, 0x3eedf032, v64
	v_fmamk_f32 v138, v49, 0x3df6dbef, v129
	v_mul_f32_e32 v139, 0x3df6dbef, v65
	v_add_f32_e32 v131, v133, v131
	v_add_f32_e32 v133, v137, v134
	v_mul_f32_e32 v137, 0x3e750f2a, v140
	v_add_f32_e32 v145, v155, v145
	v_add_f32_e32 v151, v185, v175
	;; [unrolled: 1-line block ×7, first 2 shown]
	v_fmamk_f32 v136, v64, 0x3f7e222b, v139
	v_mul_f32_e32 v138, 0xbf788fa5, v65
	v_fmac_f32_e32 v139, 0xbf7e222b, v64
	v_fmamk_f32 v141, v49, 0xbf788fa5, v137
	v_fma_f32 v137, 0xbf788fa5, v49, -v137
	v_add_f32_e32 v148, v158, v148
	v_add_f32_e32 v153, v187, v177
	;; [unrolled: 1-line block ×5, first 2 shown]
	v_fma_f32 v129, 0x3df6dbef, v49, -v129
	v_add_f32_e32 v136, v136, v142
	v_fmamk_f32 v142, v64, 0xbe750f2a, v138
	v_add_f32_e32 v125, v139, v125
	v_mul_f32_e32 v139, 0x3f52af12, v140
	v_add_f32_e32 v127, v137, v127
	v_sub_f32_e32 v137, v67, v69
	v_add_f32_e32 v128, v168, v148
	v_add_f32_e32 v145, v197, v153
	;; [unrolled: 1-line block ×5, first 2 shown]
	v_fmac_f32_e32 v138, 0x3e750f2a, v64
	v_fmamk_f32 v141, v49, 0x3f116cb1, v139
	v_mul_f32_e32 v65, 0x3f116cb1, v65
	v_add_f32_e32 v142, v68, v66
	v_mul_f32_e32 v143, 0xbf29c268, v137
	v_add_f32_e32 v67, v69, v67
	v_add_f32_e32 v128, v138, v128
	;; [unrolled: 1-line block ×3, first 2 shown]
	v_fmamk_f32 v141, v64, 0xbf52af12, v65
	v_fma_f32 v49, 0x3f116cb1, v49, -v139
	v_fmac_f32_e32 v65, 0x3f52af12, v64
	v_sub_f32_e32 v64, v66, v68
	v_fmamk_f32 v66, v142, 0xbf3f9e67, v143
	v_mul_f32_e32 v68, 0xbf3f9e67, v67
	v_add_f32_e32 v49, v49, v71
	v_add_f32_e32 v65, v65, v132
	v_fma_f32 v71, 0xbf3f9e67, v142, -v143
	v_add_f32_e32 v66, v66, v70
	v_fmamk_f32 v69, v64, 0x3f29c268, v68
	v_mul_f32_e32 v70, 0x3f7e222b, v137
	v_fmac_f32_e32 v68, 0xbf29c268, v64
	v_mul_f32_e32 v132, 0x3df6dbef, v67
	v_add_f32_e32 v71, v71, v79
	v_add_f32_e32 v69, v69, v77
	v_fmamk_f32 v77, v142, 0x3df6dbef, v70
	v_add_f32_e32 v68, v68, v80
	v_fmamk_f32 v79, v64, 0xbf7e222b, v132
	v_mul_f32_e32 v80, 0xbf52af12, v137
	v_fma_f32 v70, 0x3df6dbef, v142, -v70
	v_fmac_f32_e32 v132, 0x3f7e222b, v64
	v_add_f32_e32 v77, v77, v78
	v_add_f32_e32 v78, v79, v82
	v_fmamk_f32 v79, v142, 0x3f116cb1, v80
	v_mul_f32_e32 v82, 0x3f116cb1, v67
	v_add_f32_e32 v70, v70, v81
	v_add_f32_e32 v81, v132, v83
	v_mul_f32_e32 v83, 0x3e750f2a, v137
	v_add_f32_e32 v79, v79, v130
	v_fmamk_f32 v130, v64, 0x3f52af12, v82
	v_fma_f32 v80, 0x3f116cb1, v142, -v80
	v_mul_f32_e32 v139, 0xbf788fa5, v67
	v_fmamk_f32 v132, v142, 0xbf788fa5, v83
	v_fmac_f32_e32 v82, 0xbf52af12, v64
	v_add_f32_e32 v130, v130, v131
	v_add_f32_e32 v80, v80, v133
	v_mul_f32_e32 v133, 0x3eedf032, v137
	v_add_f32_e32 v131, v132, v135
	v_fmamk_f32 v132, v64, 0xbe750f2a, v139
	v_add_f32_e32 v154, v188, v178
	v_add_f32_e32 v82, v82, v134
	v_fma_f32 v83, 0xbf788fa5, v142, -v83
	v_mul_f32_e32 v134, 0x3f62ad3f, v67
	v_fmac_f32_e32 v139, 0x3e750f2a, v64
	v_add_f32_e32 v132, v132, v136
	v_fmamk_f32 v135, v142, 0x3f62ad3f, v133
	v_mul_f32_e32 v136, 0xbf6f5d39, v137
	v_fma_f32 v133, 0x3f62ad3f, v142, -v133
	v_add_f32_e32 v48, v48, v154
	v_add_f32_e32 v83, v83, v129
	v_fmamk_f32 v129, v64, 0xbeedf032, v134
	v_add_f32_e32 v125, v139, v125
	v_add_f32_e32 v126, v135, v126
	v_fmac_f32_e32 v134, 0x3eedf032, v64
	v_fmamk_f32 v135, v142, 0xbeb58ec6, v136
	v_mul_f32_e32 v67, 0xbeb58ec6, v67
	v_add_f32_e32 v127, v133, v127
	v_sub_f32_e32 v133, v61, v63
	v_add_f32_e32 v139, v63, v61
	v_add_f32_e32 v48, v141, v48
	;; [unrolled: 1-line block ×4, first 2 shown]
	v_fmamk_f32 v135, v64, 0x3f6f5d39, v67
	v_add_f32_e32 v137, v62, v60
	v_mul_f32_e32 v138, 0xbe750f2a, v133
	v_fma_f32 v61, 0xbeb58ec6, v142, -v136
	v_fmac_f32_e32 v67, 0xbf6f5d39, v64
	v_sub_f32_e32 v136, v60, v62
	v_mul_f32_e32 v62, 0xbf788fa5, v139
	v_mul_f32_e32 v63, 0x3eedf032, v133
	v_add_f32_e32 v129, v129, v140
	v_fmamk_f32 v60, v137, 0xbf788fa5, v138
	v_add_f32_e32 v135, v135, v48
	v_add_f32_e32 v140, v61, v49
	;; [unrolled: 1-line block ×3, first 2 shown]
	v_fmamk_f32 v48, v136, 0x3e750f2a, v62
	v_fma_f32 v49, 0xbf788fa5, v137, -v138
	v_fmac_f32_e32 v62, 0xbe750f2a, v136
	v_mul_f32_e32 v65, 0x3f62ad3f, v139
	v_fmamk_f32 v64, v137, 0x3f62ad3f, v63
	v_add_f32_e32 v60, v60, v66
	v_add_f32_e32 v61, v48, v69
	;; [unrolled: 1-line block ×4, first 2 shown]
	v_fmamk_f32 v66, v136, 0xbeedf032, v65
	v_mul_f32_e32 v67, 0xbf29c268, v133
	v_add_f32_e32 v62, v64, v77
	v_fma_f32 v64, 0x3f62ad3f, v137, -v63
	v_mul_f32_e32 v69, 0xbf3f9e67, v139
	v_mul_f32_e32 v71, 0x3f52af12, v133
	v_add_f32_e32 v63, v66, v78
	v_fmamk_f32 v66, v137, 0xbf3f9e67, v67
	v_add_f32_e32 v64, v64, v70
	v_fmamk_f32 v68, v136, 0x3f29c268, v69
	v_fma_f32 v70, 0xbf3f9e67, v137, -v67
	v_fmamk_f32 v77, v137, 0x3f116cb1, v71
	v_mul_f32_e32 v78, 0x3f116cb1, v139
	v_fmac_f32_e32 v69, 0xbf29c268, v136
	v_fmac_f32_e32 v65, 0x3eedf032, v136
	v_add_f32_e32 v66, v66, v79
	v_add_f32_e32 v67, v68, v130
	v_add_f32_e32 v68, v70, v80
	v_add_f32_e32 v70, v77, v131
	v_fmamk_f32 v77, v136, 0xbf52af12, v78
	v_mul_f32_e32 v79, 0xbf6f5d39, v133
	v_fma_f32 v80, 0x3f116cb1, v137, -v71
	v_fmac_f32_e32 v78, 0x3f52af12, v136
	v_add_f32_e32 v69, v69, v82
	v_mul_f32_e32 v82, 0xbeb58ec6, v139
	v_add_f32_e32 v65, v65, v81
	v_add_f32_e32 v71, v77, v132
	v_fmamk_f32 v81, v137, 0xbeb58ec6, v79
	v_add_f32_e32 v77, v80, v83
	v_add_f32_e32 v78, v78, v125
	v_fma_f32 v83, 0xbeb58ec6, v137, -v79
	v_mul_f32_e32 v125, 0x3f7e222b, v133
	v_mul_f32_e32 v130, 0x3df6dbef, v139
	v_fmamk_f32 v80, v136, 0x3f6f5d39, v82
	v_add_f32_e32 v79, v81, v126
	v_add_f32_e32 v81, v83, v127
	v_fmac_f32_e32 v82, 0xbf6f5d39, v136
	v_fmamk_f32 v83, v137, 0x3df6dbef, v125
	v_fmamk_f32 v126, v136, 0xbf7e222b, v130
	v_fma_f32 v127, 0x3df6dbef, v137, -v125
	v_fmac_f32_e32 v130, 0x3f7e222b, v136
	v_add_f32_e32 v80, v80, v129
	v_add_f32_e32 v82, v82, v128
	v_add_f32_e32 v125, v83, v134
	v_add_f32_e32 v126, v126, v135
	v_add_f32_e32 v127, v127, v140
	v_add_f32_e32 v128, v130, v141
	ds_write2_b64 v72, v[75:76], v[60:61] offset1:1
	ds_write2_b64 v72, v[62:63], v[66:67] offset0:2 offset1:3
	ds_write2_b64 v72, v[70:71], v[79:80] offset0:4 offset1:5
	;; [unrolled: 1-line block ×5, first 2 shown]
	ds_write_b64 v72, v[48:49] offset:96
	s_waitcnt lgkmcnt(0)
	s_barrier
	buffer_gl0_inv
	ds_read2_b64 v[60:63], v118 offset1:78
	ds_read2_b64 v[80:83], v118 offset0:169 offset1:247
	ds_read2_b64 v[76:79], v74 offset0:82 offset1:160
	;; [unrolled: 1-line block ×5, first 2 shown]
	s_and_saveexec_b32 s0, vcc_lo
	s_cbranch_execz .LBB0_7
; %bb.6:
	v_add_nc_u32_e32 v48, 0x400, v118
	v_add_nc_u32_e32 v52, 0xe00, v118
	ds_read2_b64 v[48:51], v48 offset0:28 offset1:197
	ds_read2_b64 v[52:55], v52 offset0:46 offset1:215
	ds_read2_b64 v[56:59], v123 offset0:64 offset1:233
.LBB0_7:
	s_or_b32 exec_lo, exec_lo, s0
	s_waitcnt lgkmcnt(3)
	v_mul_f32_e32 v124, v27, v77
	v_mul_f32_e32 v27, v27, v76
	;; [unrolled: 1-line block ×4, first 2 shown]
	s_waitcnt lgkmcnt(0)
	v_fmac_f32_e32 v124, v26, v76
	v_fma_f32 v26, v26, v77, -v27
	v_mul_f32_e32 v27, v19, v69
	v_fmac_f32_e32 v123, v24, v80
	v_fma_f32 v24, v24, v81, -v25
	v_mul_f32_e32 v25, v17, v73
	v_mul_f32_e32 v17, v17, v72
	;; [unrolled: 1-line block ×3, first 2 shown]
	v_fmac_f32_e32 v27, v18, v68
	v_mul_f32_e32 v68, v116, v64
	v_fmac_f32_e32 v25, v16, v72
	v_fma_f32 v16, v16, v73, -v17
	v_mul_f32_e32 v17, v116, v65
	v_fma_f32 v18, v18, v69, -v19
	v_fma_f32 v19, v115, v65, -v68
	v_mul_f32_e32 v68, v9, v75
	v_mul_f32_e32 v9, v9, v74
	v_fmac_f32_e32 v17, v115, v64
	v_mul_f32_e32 v64, v15, v79
	v_mul_f32_e32 v15, v15, v78
	;; [unrolled: 1-line block ×3, first 2 shown]
	v_fmac_f32_e32 v68, v8, v74
	v_mul_f32_e32 v11, v11, v70
	v_fma_f32 v74, v8, v75, -v9
	v_mul_f32_e32 v75, v114, v67
	v_mul_f32_e32 v8, v114, v66
	v_add_f32_e32 v9, v124, v27
	v_fma_f32 v72, v14, v79, -v15
	v_fmac_f32_e32 v73, v10, v70
	v_fma_f32 v70, v10, v71, -v11
	v_fmac_f32_e32 v75, v113, v66
	v_add_f32_e32 v10, v60, v124
	v_fma_f32 v66, v113, v67, -v8
	v_add_f32_e32 v8, v26, v18
	v_fma_f32 v15, -0.5, v9, v60
	v_sub_f32_e32 v9, v26, v18
	v_fmac_f32_e32 v64, v14, v78
	v_add_f32_e32 v14, v10, v27
	v_add_f32_e32 v10, v61, v26
	v_fma_f32 v26, -0.5, v8, v61
	v_sub_f32_e32 v8, v124, v27
	v_fmamk_f32 v27, v9, 0xbf5db3d7, v15
	v_fmac_f32_e32 v15, 0x3f5db3d7, v9
	v_add_f32_e32 v9, v16, v19
	v_mul_f32_e32 v69, v13, v83
	v_mul_f32_e32 v13, v13, v82
	v_add_f32_e32 v60, v10, v18
	v_add_f32_e32 v10, v25, v17
	;; [unrolled: 1-line block ×3, first 2 shown]
	v_fmac_f32_e32 v24, -0.5, v9
	v_sub_f32_e32 v9, v25, v17
	v_fmac_f32_e32 v69, v12, v82
	v_fma_f32 v65, v12, v83, -v13
	v_fmamk_f32 v61, v8, 0x3f5db3d7, v26
	v_add_f32_e32 v12, v123, v25
	v_fmac_f32_e32 v123, -0.5, v10
	v_sub_f32_e32 v10, v16, v19
	v_fmac_f32_e32 v26, 0xbf5db3d7, v8
	v_fmamk_f32 v8, v9, 0x3f5db3d7, v24
	v_fmac_f32_e32 v24, 0xbf5db3d7, v9
	v_add_f32_e32 v16, v12, v17
	v_fmamk_f32 v9, v10, 0xbf5db3d7, v123
	v_fmac_f32_e32 v123, 0x3f5db3d7, v10
	v_mul_f32_e32 v17, 0xbf5db3d7, v8
	v_mul_f32_e32 v18, 0xbf5db3d7, v24
	v_mul_f32_e32 v25, 0.5, v8
	v_mul_f32_e32 v24, -0.5, v24
	v_add_f32_e32 v19, v11, v19
	v_fmac_f32_e32 v17, 0.5, v9
	v_fmac_f32_e32 v18, -0.5, v123
	v_add_f32_e32 v8, v14, v16
	v_fmac_f32_e32 v25, 0x3f5db3d7, v9
	v_fmac_f32_e32 v24, 0x3f5db3d7, v123
	v_add_f32_e32 v10, v27, v17
	v_sub_f32_e32 v14, v14, v16
	v_sub_f32_e32 v16, v27, v17
	v_add_f32_e32 v27, v64, v73
	v_add_f32_e32 v12, v15, v18
	;; [unrolled: 1-line block ×5, first 2 shown]
	v_sub_f32_e32 v18, v15, v18
	v_sub_f32_e32 v15, v60, v19
	;; [unrolled: 1-line block ×3, first 2 shown]
	v_add_f32_e32 v25, v62, v64
	v_sub_f32_e32 v19, v26, v24
	v_fma_f32 v62, -0.5, v27, v62
	v_sub_f32_e32 v26, v72, v70
	v_add_f32_e32 v24, v72, v70
	v_add_f32_e32 v67, v25, v73
	v_add_f32_e32 v25, v63, v72
	v_add_f32_e32 v27, v65, v74
	v_fmamk_f32 v71, v26, 0xbf5db3d7, v62
	v_fmac_f32_e32 v62, 0x3f5db3d7, v26
	v_add_f32_e32 v26, v74, v66
	v_fmac_f32_e32 v63, -0.5, v24
	v_sub_f32_e32 v24, v64, v73
	v_add_f32_e32 v70, v25, v70
	v_add_f32_e32 v25, v68, v75
	v_fmac_f32_e32 v65, -0.5, v26
	v_sub_f32_e32 v26, v68, v75
	v_fmamk_f32 v72, v24, 0x3f5db3d7, v63
	v_add_f32_e32 v60, v69, v68
	v_fmac_f32_e32 v69, -0.5, v25
	v_sub_f32_e32 v25, v74, v66
	v_fmac_f32_e32 v63, 0xbf5db3d7, v24
	v_fmamk_f32 v24, v26, 0x3f5db3d7, v65
	v_fmac_f32_e32 v65, 0xbf5db3d7, v26
	v_add_f32_e32 v64, v60, v75
	v_fmamk_f32 v26, v25, 0xbf5db3d7, v69
	v_fmac_f32_e32 v69, 0x3f5db3d7, v25
	v_mul_f32_e32 v68, 0xbf5db3d7, v24
	v_mul_f32_e32 v75, 0.5, v24
	v_mul_f32_e32 v73, 0xbf5db3d7, v65
	v_mul_f32_e32 v76, -0.5, v65
	v_add_f32_e32 v74, v27, v66
	v_fmac_f32_e32 v68, 0.5, v26
	v_fmac_f32_e32 v75, 0x3f5db3d7, v26
	v_fmac_f32_e32 v73, -0.5, v69
	v_fmac_f32_e32 v76, 0x3f5db3d7, v69
	v_add_f32_e32 v24, v67, v64
	v_add_f32_e32 v26, v71, v68
	;; [unrolled: 1-line block ×6, first 2 shown]
	v_sub_f32_e32 v64, v67, v64
	v_sub_f32_e32 v65, v70, v74
	v_sub_f32_e32 v66, v71, v68
	v_sub_f32_e32 v62, v62, v73
	v_sub_f32_e32 v67, v72, v75
	v_sub_f32_e32 v63, v63, v76
	s_barrier
	buffer_gl0_inv
	ds_write2_b64 v122, v[8:9], v[10:11] offset1:13
	ds_write2_b64 v122, v[12:13], v[14:15] offset0:26 offset1:39
	ds_write2_b64 v122, v[16:17], v[18:19] offset0:52 offset1:65
	ds_write2_b64 v121, v[24:25], v[26:27] offset1:13
	ds_write2_b64 v121, v[60:61], v[64:65] offset0:26 offset1:39
	ds_write2_b64 v121, v[66:67], v[62:63] offset0:52 offset1:65
	s_and_saveexec_b32 s0, vcc_lo
	s_cbranch_execz .LBB0_9
; %bb.8:
	v_mul_f32_e32 v10, v1, v55
	v_mul_f32_e32 v1, v1, v54
	v_mul_f32_e32 v11, v112, v58
	v_mul_f32_e32 v12, v112, v59
	v_mul_f32_e32 v13, v5, v50
	v_mul_f32_e32 v5, v5, v51
	v_fma_f32 v14, v0, v55, -v1
	v_fma_f32 v11, v111, v59, -v11
	v_fmac_f32_e32 v10, v0, v54
	v_fmac_f32_e32 v12, v111, v58
	v_fma_f32 v0, v4, v51, -v13
	v_mul_f32_e32 v8, v7, v52
	v_add_f32_e32 v13, v14, v11
	v_mul_f32_e32 v9, v3, v56
	v_mul_f32_e32 v7, v7, v53
	;; [unrolled: 1-line block ×3, first 2 shown]
	v_fmac_f32_e32 v5, v4, v50
	v_add_f32_e32 v3, v10, v12
	v_fma_f32 v4, -0.5, v13, v0
	v_sub_f32_e32 v13, v10, v12
	v_fma_f32 v8, v6, v53, -v8
	v_fma_f32 v9, v2, v57, -v9
	v_fmac_f32_e32 v7, v6, v52
	v_fmac_f32_e32 v15, v2, v56
	v_fma_f32 v2, -0.5, v3, v5
	v_sub_f32_e32 v3, v14, v11
	v_fmamk_f32 v6, v13, 0xbf5db3d7, v4
	v_add_f32_e32 v1, v8, v9
	v_fmac_f32_e32 v4, 0x3f5db3d7, v13
	v_add_f32_e32 v24, v49, v8
	v_fmamk_f32 v13, v3, 0x3f5db3d7, v2
	v_mul_f32_e32 v17, -0.5, v6
	v_add_f32_e32 v25, v7, v15
	v_add_f32_e32 v0, v0, v14
	v_mul_f32_e32 v6, 0xbf5db3d7, v6
	v_fma_f32 v16, -0.5, v1, v49
	v_sub_f32_e32 v1, v7, v15
	v_fmac_f32_e32 v2, 0xbf5db3d7, v3
	v_mul_f32_e32 v18, 0.5, v4
	v_fmac_f32_e32 v17, 0x3f5db3d7, v13
	v_add_f32_e32 v14, v24, v9
	v_fma_f32 v24, -0.5, v25, v48
	v_sub_f32_e32 v8, v8, v9
	v_add_f32_e32 v11, v0, v11
	v_add_f32_e32 v0, v48, v7
	;; [unrolled: 1-line block ×3, first 2 shown]
	v_fmac_f32_e32 v6, -0.5, v13
	v_mul_f32_e32 v13, 0xbf5db3d7, v4
	v_fmamk_f32 v19, v1, 0xbf5db3d7, v16
	v_fmac_f32_e32 v16, 0x3f5db3d7, v1
	v_fmac_f32_e32 v18, 0x3f5db3d7, v2
	v_fmamk_f32 v25, v8, 0x3f5db3d7, v24
	v_add_f32_e32 v10, v0, v15
	v_add_f32_e32 v12, v5, v12
	v_fmac_f32_e32 v24, 0xbf5db3d7, v8
	v_fmac_f32_e32 v13, 0.5, v2
	v_lshl_add_u32 v2, v120, 3, v119
	v_sub_f32_e32 v5, v14, v11
	v_sub_f32_e32 v4, v10, v12
	v_add_f32_e32 v9, v16, v18
	v_add_f32_e32 v11, v14, v11
	;; [unrolled: 1-line block ×4, first 2 shown]
	v_add_nc_u32_e32 v12, 0x1800, v2
	v_sub_f32_e32 v0, v25, v6
	v_add_f32_e32 v7, v19, v17
	v_add_f32_e32 v6, v25, v6
	v_sub_f32_e32 v1, v19, v17
	v_sub_f32_e32 v3, v16, v18
	;; [unrolled: 1-line block ×3, first 2 shown]
	ds_write2_b64 v12, v[10:11], v[8:9] offset0:168 offset1:181
	ds_write2_b64 v12, v[6:7], v[4:5] offset0:194 offset1:207
	;; [unrolled: 1-line block ×3, first 2 shown]
.LBB0_9:
	s_or_b32 exec_lo, exec_lo, s0
	s_waitcnt lgkmcnt(0)
	s_barrier
	buffer_gl0_inv
	ds_read2_b64 v[12:15], v118 offset1:78
	ds_read2_b64 v[6:9], v118 offset0:156 offset1:234
	v_add_nc_u32_e32 v5, 0x800, v118
	v_add_nc_u32_e32 v4, 0xc00, v118
	;; [unrolled: 1-line block ×4, first 2 shown]
	s_mov_b32 s0, 0xfc7729e9
	ds_read2_b64 v[16:19], v5 offset0:56 offset1:134
	ds_read_b64 v[0:1], v118 offset:7488
	ds_read2_b64 v[24:27], v4 offset0:84 offset1:162
	ds_read2_b64 v[48:51], v3 offset0:112 offset1:190
	;; [unrolled: 1-line block ×3, first 2 shown]
	s_mov_b32 s1, 0x3f502864
	s_mul_i32 s2, s9, 0x270
	s_mul_hi_u32 s3, s8, 0x270
	s_add_i32 s2, s3, s2
	s_mul_i32 s3, s8, 0x270
	s_waitcnt lgkmcnt(6)
	v_mul_f32_e32 v56, v45, v15
	v_mul_f32_e32 v10, v45, v14
	s_waitcnt lgkmcnt(5)
	v_mul_f32_e32 v45, v47, v7
	v_mul_f32_e32 v11, v47, v6
	v_mul_f32_e32 v47, v41, v9
	v_mul_f32_e32 v41, v41, v8
	v_fmac_f32_e32 v56, v44, v14
	v_fma_f32 v14, v44, v15, -v10
	v_fmac_f32_e32 v45, v46, v6
	s_waitcnt lgkmcnt(4)
	v_mul_f32_e32 v44, v43, v17
	v_mul_f32_e32 v6, v43, v16
	v_fma_f32 v15, v46, v7, -v11
	v_fmac_f32_e32 v47, v40, v8
	v_fma_f32 v40, v40, v9, -v41
	v_fmac_f32_e32 v44, v42, v16
	v_fma_f32 v16, v42, v17, -v6
	v_add_f32_e32 v9, v12, v56
	v_add_f32_e32 v17, v13, v14
	v_mul_f32_e32 v10, v33, v19
	v_mul_f32_e32 v7, v33, v18
	s_waitcnt lgkmcnt(2)
	v_mul_f32_e32 v6, v35, v25
	v_add_f32_e32 v9, v9, v45
	v_add_f32_e32 v17, v17, v15
	v_fmac_f32_e32 v10, v32, v18
	v_fma_f32 v11, v32, v19, -v7
	v_mul_f32_e32 v7, v21, v27
	v_mul_f32_e32 v18, v21, v26
	v_add_f32_e32 v21, v9, v47
	v_add_f32_e32 v17, v17, v40
	v_mul_f32_e32 v8, v35, v24
	v_fmac_f32_e32 v7, v20, v26
	v_fma_f32 v9, v20, v27, -v18
	v_add_f32_e32 v20, v21, v44
	v_add_f32_e32 v17, v17, v16
	v_fmac_f32_e32 v6, v34, v24
	v_fma_f32 v8, v34, v25, -v8
	s_waitcnt lgkmcnt(1)
	v_mul_f32_e32 v19, v23, v49
	v_add_f32_e32 v20, v20, v10
	v_add_f32_e32 v17, v17, v11
	v_mul_f32_e32 v18, v23, v48
	v_mul_f32_e32 v21, v37, v51
	v_fmac_f32_e32 v19, v22, v48
	v_add_f32_e32 v20, v20, v6
	v_add_f32_e32 v17, v17, v8
	v_fma_f32 v18, v22, v49, -v18
	v_mul_f32_e32 v22, v37, v50
	v_mul_f32_e32 v26, v31, v0
	v_add_f32_e32 v20, v20, v7
	v_add_f32_e32 v17, v17, v9
	v_fmac_f32_e32 v21, v36, v50
	s_waitcnt lgkmcnt(0)
	v_mul_f32_e32 v23, v39, v53
	v_fma_f32 v22, v36, v51, -v22
	v_mul_f32_e32 v24, v39, v52
	v_add_f32_e32 v20, v20, v19
	v_add_f32_e32 v17, v17, v18
	v_mul_f32_e32 v27, v31, v1
	v_fma_f32 v1, v30, v1, -v26
	v_fmac_f32_e32 v23, v38, v52
	v_mul_f32_e32 v25, v29, v55
	v_fma_f32 v24, v38, v53, -v24
	v_mul_f32_e32 v26, v29, v54
	v_add_f32_e32 v20, v20, v21
	v_add_f32_e32 v17, v17, v22
	v_fmac_f32_e32 v27, v30, v0
	v_sub_f32_e32 v29, v14, v1
	v_fmac_f32_e32 v25, v28, v54
	v_fma_f32 v26, v28, v55, -v26
	v_add_f32_e32 v0, v20, v23
	v_add_f32_e32 v17, v17, v24
	;; [unrolled: 1-line block ×3, first 2 shown]
	v_mul_f32_e32 v28, 0xbeedf032, v29
	v_add_f32_e32 v14, v14, v1
	v_sub_f32_e32 v53, v15, v26
	v_add_f32_e32 v17, v17, v26
	v_add_f32_e32 v0, v0, v25
	v_fmamk_f32 v31, v20, 0x3f62ad3f, v28
	v_sub_f32_e32 v30, v56, v27
	v_mul_f32_e32 v32, 0x3f62ad3f, v14
	v_add_f32_e32 v1, v17, v1
	v_mul_f32_e32 v33, 0x3f116cb1, v14
	v_add_f32_e32 v17, v12, v31
	v_mul_f32_e32 v31, 0xbf52af12, v29
	v_mul_f32_e32 v36, 0xbf7e222b, v29
	;; [unrolled: 1-line block ×9, first 2 shown]
	v_add_f32_e32 v55, v45, v25
	v_mul_f32_e32 v56, 0xbf52af12, v53
	v_add_f32_e32 v15, v15, v26
	v_add_f32_e32 v0, v0, v27
	v_fmamk_f32 v27, v30, 0x3eedf032, v32
	v_fma_f32 v28, 0x3f62ad3f, v20, -v28
	v_fmac_f32_e32 v32, 0xbeedf032, v30
	v_fmamk_f32 v34, v20, 0x3f116cb1, v31
	v_fmamk_f32 v35, v30, 0x3f52af12, v33
	v_fma_f32 v31, 0x3f116cb1, v20, -v31
	v_fmac_f32_e32 v33, 0xbf52af12, v30
	v_fmamk_f32 v37, v20, 0x3df6dbef, v36
	;; [unrolled: 4-line block ×5, first 2 shown]
	v_fmamk_f32 v54, v30, 0x3e750f2a, v14
	v_fma_f32 v20, 0xbf788fa5, v20, -v29
	v_fmac_f32_e32 v14, 0xbe750f2a, v30
	v_sub_f32_e32 v25, v45, v25
	v_fmamk_f32 v26, v55, 0x3f116cb1, v56
	v_mul_f32_e32 v29, 0x3f116cb1, v15
	v_add_f32_e32 v27, v13, v27
	v_add_f32_e32 v28, v12, v28
	;; [unrolled: 1-line block ×24, first 2 shown]
	v_fmamk_f32 v17, v25, 0x3f52af12, v29
	v_mul_f32_e32 v20, 0xbf6f5d39, v53
	v_fma_f32 v26, 0x3f116cb1, v55, -v56
	v_fmac_f32_e32 v29, 0xbf52af12, v25
	v_mul_f32_e32 v45, 0xbeb58ec6, v15
	v_add_f32_e32 v17, v17, v27
	v_fmamk_f32 v27, v55, 0xbeb58ec6, v20
	v_add_f32_e32 v26, v26, v28
	v_add_f32_e32 v28, v29, v32
	v_fmamk_f32 v29, v25, 0x3f6f5d39, v45
	v_mul_f32_e32 v32, 0xbe750f2a, v53
	v_add_f32_e32 v27, v27, v34
	v_fma_f32 v20, 0xbeb58ec6, v55, -v20
	v_fmac_f32_e32 v45, 0xbf6f5d39, v25
	v_add_f32_e32 v29, v29, v35
	v_fmamk_f32 v34, v55, 0xbf788fa5, v32
	v_mul_f32_e32 v35, 0xbf788fa5, v15
	v_add_f32_e32 v20, v20, v31
	v_add_f32_e32 v31, v45, v33
	v_mul_f32_e32 v33, 0x3f29c268, v53
	v_add_f32_e32 v34, v34, v37
	v_fmamk_f32 v37, v25, 0x3e750f2a, v35
	v_fmac_f32_e32 v35, 0xbe750f2a, v25
	v_mul_f32_e32 v54, 0xbf3f9e67, v15
	v_fma_f32 v32, 0xbf788fa5, v55, -v32
	v_fmamk_f32 v45, v55, 0xbf3f9e67, v33
	v_add_f32_e32 v37, v37, v41
	v_add_f32_e32 v35, v35, v38
	v_fmamk_f32 v38, v25, 0xbf29c268, v54
	v_mul_f32_e32 v41, 0x3f7e222b, v53
	v_add_f32_e32 v32, v32, v36
	v_add_f32_e32 v36, v45, v42
	v_fma_f32 v33, 0xbf3f9e67, v55, -v33
	v_mul_f32_e32 v42, 0x3df6dbef, v15
	v_add_f32_e32 v38, v38, v46
	v_fmamk_f32 v45, v55, 0x3df6dbef, v41
	v_mul_f32_e32 v46, 0x3eedf032, v53
	v_fma_f32 v41, 0x3df6dbef, v55, -v41
	v_add_f32_e32 v33, v33, v39
	v_fmamk_f32 v39, v25, 0xbf7e222b, v42
	v_add_f32_e32 v45, v45, v50
	v_fmac_f32_e32 v42, 0x3f7e222b, v25
	v_fmamk_f32 v50, v55, 0x3f62ad3f, v46
	v_add_f32_e32 v41, v41, v48
	v_sub_f32_e32 v48, v40, v24
	v_add_f32_e32 v39, v39, v51
	v_mul_f32_e32 v15, 0x3f62ad3f, v15
	v_add_f32_e32 v42, v42, v49
	v_add_f32_e32 v49, v50, v52
	;; [unrolled: 1-line block ×3, first 2 shown]
	v_mul_f32_e32 v52, 0xbf7e222b, v48
	v_add_f32_e32 v24, v40, v24
	v_fmac_f32_e32 v54, 0x3f29c268, v25
	v_fmamk_f32 v50, v25, 0xbeedf032, v15
	v_fma_f32 v40, 0x3f62ad3f, v55, -v46
	v_fmac_f32_e32 v15, 0x3eedf032, v25
	v_sub_f32_e32 v23, v47, v23
	v_fmamk_f32 v25, v51, 0x3df6dbef, v52
	v_mul_f32_e32 v46, 0x3df6dbef, v24
	v_add_f32_e32 v12, v40, v12
	v_add_f32_e32 v13, v15, v13
	v_fma_f32 v40, 0x3df6dbef, v51, -v52
	v_add_f32_e32 v14, v25, v14
	v_fmamk_f32 v15, v23, 0x3f7e222b, v46
	v_mul_f32_e32 v25, 0xbe750f2a, v48
	v_fmac_f32_e32 v46, 0xbf7e222b, v23
	v_mul_f32_e32 v47, 0xbf788fa5, v24
	v_add_f32_e32 v26, v40, v26
	v_add_f32_e32 v15, v15, v17
	v_fmamk_f32 v17, v51, 0xbf788fa5, v25
	v_add_f32_e32 v28, v46, v28
	v_fmamk_f32 v40, v23, 0x3e750f2a, v47
	v_mul_f32_e32 v46, 0x3f6f5d39, v48
	v_add_f32_e32 v30, v50, v30
	v_add_f32_e32 v17, v17, v27
	v_fma_f32 v25, 0xbf788fa5, v51, -v25
	v_add_f32_e32 v27, v40, v29
	v_fmamk_f32 v29, v51, 0xbeb58ec6, v46
	v_mul_f32_e32 v40, 0xbeb58ec6, v24
	v_fmac_f32_e32 v47, 0xbe750f2a, v23
	v_mul_f32_e32 v50, 0x3f62ad3f, v24
	v_add_f32_e32 v20, v25, v20
	v_add_f32_e32 v29, v29, v34
	v_fmamk_f32 v34, v23, 0xbf6f5d39, v40
	v_fmac_f32_e32 v40, 0x3f6f5d39, v23
	v_add_f32_e32 v25, v47, v31
	v_mul_f32_e32 v31, 0x3eedf032, v48
	v_fma_f32 v46, 0xbeb58ec6, v51, -v46
	v_add_f32_e32 v34, v34, v37
	v_add_f32_e32 v35, v40, v35
	v_fmamk_f32 v37, v23, 0xbeedf032, v50
	v_mul_f32_e32 v40, 0xbf52af12, v48
	v_fmamk_f32 v47, v51, 0x3f62ad3f, v31
	v_add_f32_e32 v32, v46, v32
	v_fma_f32 v31, 0x3f62ad3f, v51, -v31
	v_mul_f32_e32 v46, 0x3f116cb1, v24
	v_add_f32_e32 v37, v37, v38
	v_fmamk_f32 v38, v51, 0x3f116cb1, v40
	v_fma_f32 v40, 0x3f116cb1, v51, -v40
	v_add_f32_e32 v31, v31, v33
	v_fmamk_f32 v33, v23, 0x3f52af12, v46
	v_fmac_f32_e32 v46, 0xbf52af12, v23
	v_add_f32_e32 v36, v47, v36
	v_add_f32_e32 v40, v40, v41
	v_sub_f32_e32 v41, v16, v22
	v_mul_f32_e32 v47, 0xbf29c268, v48
	v_mul_f32_e32 v24, 0xbf3f9e67, v24
	v_add_f32_e32 v42, v46, v42
	v_add_f32_e32 v46, v44, v21
	v_mul_f32_e32 v48, 0xbf6f5d39, v41
	v_add_f32_e32 v16, v16, v22
	v_fmac_f32_e32 v50, 0x3eedf032, v23
	v_add_f32_e32 v38, v38, v45
	v_fmamk_f32 v45, v23, 0x3f29c268, v24
	v_fma_f32 v22, 0xbf3f9e67, v51, -v47
	v_fmac_f32_e32 v24, 0xbf29c268, v23
	v_sub_f32_e32 v21, v44, v21
	v_fmamk_f32 v23, v46, 0xbeb58ec6, v48
	v_mul_f32_e32 v44, 0xbeb58ec6, v16
	v_add_f32_e32 v12, v22, v12
	v_add_f32_e32 v30, v45, v30
	;; [unrolled: 1-line block ×4, first 2 shown]
	v_fmamk_f32 v22, v21, 0x3f6f5d39, v44
	v_mul_f32_e32 v23, 0x3f29c268, v41
	v_fma_f32 v24, 0xbeb58ec6, v46, -v48
	v_fmac_f32_e32 v44, 0xbf6f5d39, v21
	v_mul_f32_e32 v45, 0xbf3f9e67, v16
	v_add_f32_e32 v15, v22, v15
	v_fmamk_f32 v22, v46, 0xbf3f9e67, v23
	v_add_f32_e32 v24, v24, v26
	v_add_f32_e32 v26, v44, v28
	v_fmamk_f32 v28, v21, 0xbf29c268, v45
	v_mul_f32_e32 v44, 0x3eedf032, v41
	v_add_f32_e32 v17, v22, v17
	v_fma_f32 v22, 0xbf3f9e67, v46, -v23
	v_fmac_f32_e32 v45, 0x3f29c268, v21
	v_add_f32_e32 v23, v28, v27
	v_fmamk_f32 v27, v46, 0x3f62ad3f, v44
	v_mul_f32_e32 v28, 0x3f62ad3f, v16
	v_add_f32_e32 v20, v22, v20
	v_add_f32_e32 v22, v45, v25
	v_mul_f32_e32 v25, 0xbf7e222b, v41
	v_add_f32_e32 v33, v33, v39
	v_fmamk_f32 v39, v51, 0xbf3f9e67, v47
	v_add_f32_e32 v27, v27, v29
	v_fmamk_f32 v29, v21, 0xbeedf032, v28
	v_fma_f32 v44, 0x3f62ad3f, v46, -v44
	v_fmac_f32_e32 v28, 0x3eedf032, v21
	v_fmamk_f32 v45, v46, 0x3df6dbef, v25
	v_mul_f32_e32 v47, 0x3df6dbef, v16
	v_add_f32_e32 v29, v29, v34
	v_add_f32_e32 v32, v44, v32
	;; [unrolled: 1-line block ×4, first 2 shown]
	v_fmamk_f32 v35, v21, 0x3f7e222b, v47
	v_mul_f32_e32 v36, 0x3e750f2a, v41
	v_fma_f32 v25, 0x3df6dbef, v46, -v25
	v_mul_f32_e32 v44, 0xbf788fa5, v16
	v_mul_f32_e32 v41, 0x3f52af12, v41
	v_add_f32_e32 v35, v35, v37
	v_fmamk_f32 v37, v46, 0xbf788fa5, v36
	v_add_f32_e32 v25, v25, v31
	v_fmamk_f32 v31, v21, 0xbe750f2a, v44
	v_add_f32_e32 v39, v39, v49
	v_fma_f32 v36, 0xbf788fa5, v46, -v36
	v_add_f32_e32 v37, v37, v38
	v_fmac_f32_e32 v44, 0x3e750f2a, v21
	v_add_f32_e32 v31, v31, v33
	v_fmamk_f32 v33, v46, 0x3f116cb1, v41
	v_mul_f32_e32 v16, 0x3f116cb1, v16
	v_sub_f32_e32 v38, v11, v18
	v_add_f32_e32 v11, v11, v18
	v_fmac_f32_e32 v47, 0xbf7e222b, v21
	v_add_f32_e32 v36, v36, v40
	v_add_f32_e32 v40, v44, v42
	;; [unrolled: 1-line block ×3, first 2 shown]
	v_fmamk_f32 v39, v21, 0xbf52af12, v16
	v_add_f32_e32 v42, v10, v19
	v_mul_f32_e32 v44, 0xbf29c268, v38
	v_fma_f32 v18, 0x3f116cb1, v46, -v41
	v_fmac_f32_e32 v16, 0x3f52af12, v21
	v_sub_f32_e32 v10, v10, v19
	v_mul_f32_e32 v21, 0xbf3f9e67, v11
	v_fmamk_f32 v19, v42, 0xbf3f9e67, v44
	v_add_f32_e32 v12, v18, v12
	v_add_f32_e32 v13, v16, v13
	v_mul_f32_e32 v18, 0x3f7e222b, v38
	v_fmamk_f32 v16, v10, 0x3f29c268, v21
	v_add_f32_e32 v30, v39, v30
	v_add_f32_e32 v14, v19, v14
	v_fma_f32 v19, 0xbf3f9e67, v42, -v44
	v_fmac_f32_e32 v21, 0xbf29c268, v10
	v_mul_f32_e32 v39, 0x3df6dbef, v11
	v_add_f32_e32 v15, v16, v15
	v_fmamk_f32 v16, v42, 0x3df6dbef, v18
	v_add_f32_e32 v19, v19, v24
	v_add_f32_e32 v21, v21, v26
	v_fmamk_f32 v24, v10, 0xbf7e222b, v39
	v_mul_f32_e32 v26, 0xbf52af12, v38
	v_add_f32_e32 v16, v16, v17
	v_fma_f32 v17, 0x3df6dbef, v42, -v18
	v_fmac_f32_e32 v39, 0x3f7e222b, v10
	v_add_f32_e32 v18, v24, v23
	v_fmamk_f32 v23, v42, 0x3f116cb1, v26
	v_mul_f32_e32 v24, 0x3f116cb1, v11
	v_add_f32_e32 v17, v17, v20
	v_add_f32_e32 v20, v39, v22
	v_mul_f32_e32 v22, 0x3e750f2a, v38
	v_add_f32_e32 v43, v54, v43
	v_add_f32_e32 v23, v23, v27
	v_fmamk_f32 v27, v10, 0x3f52af12, v24
	v_fmac_f32_e32 v24, 0xbf52af12, v10
	v_fmamk_f32 v39, v42, 0xbf788fa5, v22
	v_add_f32_e32 v43, v50, v43
	v_fma_f32 v26, 0x3f116cb1, v42, -v26
	v_mul_f32_e32 v41, 0xbf788fa5, v11
	v_add_f32_e32 v24, v24, v28
	v_add_f32_e32 v28, v39, v34
	v_fma_f32 v22, 0xbf788fa5, v42, -v22
	v_mul_f32_e32 v34, 0x3f62ad3f, v11
	v_add_f32_e32 v43, v47, v43
	v_add_f32_e32 v27, v27, v29
	;; [unrolled: 1-line block ×3, first 2 shown]
	v_fmamk_f32 v29, v10, 0xbe750f2a, v41
	v_mul_f32_e32 v32, 0x3eedf032, v38
	v_fmac_f32_e32 v41, 0x3e750f2a, v10
	v_add_f32_e32 v22, v22, v25
	v_fmamk_f32 v25, v10, 0xbeedf032, v34
	v_mul_f32_e32 v38, 0xbf6f5d39, v38
	v_add_f32_e32 v29, v29, v35
	v_fmamk_f32 v35, v42, 0x3f62ad3f, v32
	v_add_f32_e32 v39, v41, v43
	v_fma_f32 v32, 0x3f62ad3f, v42, -v32
	v_add_f32_e32 v25, v25, v31
	v_fmamk_f32 v31, v42, 0xbeb58ec6, v38
	v_mul_f32_e32 v11, 0xbeb58ec6, v11
	v_add_f32_e32 v41, v8, v9
	v_fmac_f32_e32 v34, 0x3eedf032, v10
	v_add_f32_e32 v32, v32, v36
	v_sub_f32_e32 v36, v8, v9
	v_add_f32_e32 v31, v31, v33
	v_fmamk_f32 v33, v10, 0x3f6f5d39, v11
	v_fma_f32 v8, 0xbeb58ec6, v42, -v38
	v_fmac_f32_e32 v11, 0xbf6f5d39, v10
	v_sub_f32_e32 v38, v6, v7
	v_mul_f32_e32 v9, 0xbf788fa5, v41
	v_add_f32_e32 v35, v35, v37
	v_add_f32_e32 v34, v34, v40
	;; [unrolled: 1-line block ×3, first 2 shown]
	v_mul_f32_e32 v40, 0xbe750f2a, v36
	v_add_f32_e32 v42, v11, v13
	v_fmamk_f32 v7, v38, 0x3e750f2a, v9
	v_mul_f32_e32 v11, 0x3eedf032, v36
	v_mul_f32_e32 v13, 0x3f62ad3f, v41
	v_fmamk_f32 v6, v37, 0xbf788fa5, v40
	v_add_f32_e32 v30, v33, v30
	v_add_f32_e32 v33, v8, v12
	v_fma_f32 v8, 0xbf788fa5, v37, -v40
	v_add_f32_e32 v7, v7, v15
	v_fmamk_f32 v10, v37, 0x3f62ad3f, v11
	v_fmamk_f32 v12, v38, 0xbeedf032, v13
	v_mul_f32_e32 v15, 0xbf29c268, v36
	v_add_f32_e32 v6, v6, v14
	v_fmac_f32_e32 v9, 0xbe750f2a, v38
	v_add_f32_e32 v8, v8, v19
	v_add_f32_e32 v10, v10, v16
	v_fma_f32 v14, 0x3f62ad3f, v37, -v11
	v_fmac_f32_e32 v13, 0x3eedf032, v38
	v_add_f32_e32 v11, v12, v18
	v_fmamk_f32 v16, v37, 0xbf3f9e67, v15
	v_mul_f32_e32 v18, 0xbf3f9e67, v41
	v_mul_f32_e32 v19, 0x3f52af12, v36
	v_add_f32_e32 v9, v9, v21
	v_add_f32_e32 v12, v14, v17
	;; [unrolled: 1-line block ×4, first 2 shown]
	v_fmamk_f32 v16, v38, 0x3f29c268, v18
	v_fma_f32 v17, 0xbf3f9e67, v37, -v15
	v_fmac_f32_e32 v18, 0xbf29c268, v38
	v_fmamk_f32 v20, v37, 0x3f116cb1, v19
	v_mul_f32_e32 v21, 0x3f116cb1, v41
	v_add_f32_e32 v15, v16, v27
	v_add_f32_e32 v16, v17, v26
	;; [unrolled: 1-line block ×4, first 2 shown]
	v_fmamk_f32 v20, v38, 0xbf52af12, v21
	v_fma_f32 v23, 0x3f116cb1, v37, -v19
	v_mul_f32_e32 v40, 0xbeb58ec6, v41
	v_mul_f32_e32 v24, 0xbf6f5d39, v36
	v_mul_f32_e32 v26, 0x3f7e222b, v36
	v_add_f32_e32 v19, v20, v29
	v_add_f32_e32 v20, v23, v22
	v_fmamk_f32 v23, v38, 0x3f6f5d39, v40
	v_mul_f32_e32 v29, 0x3df6dbef, v41
	v_fmamk_f32 v22, v37, 0xbeb58ec6, v24
	v_fma_f32 v28, 0x3df6dbef, v37, -v26
	v_fmac_f32_e32 v21, 0x3f52af12, v38
	v_add_f32_e32 v23, v23, v25
	v_fmamk_f32 v25, v37, 0x3df6dbef, v26
	v_fmamk_f32 v27, v38, 0xbf7e222b, v29
	v_fmac_f32_e32 v29, 0x3f7e222b, v38
	v_fma_f32 v24, 0xbeb58ec6, v37, -v24
	v_fmac_f32_e32 v40, 0xbf6f5d39, v38
	v_add_f32_e32 v22, v22, v35
	v_add_f32_e32 v26, v25, v31
	;; [unrolled: 1-line block ×8, first 2 shown]
	ds_write2_b64 v118, v[0:1], v[6:7] offset1:78
	ds_write2_b64 v118, v[10:11], v[14:15] offset0:156 offset1:234
	ds_write2_b64 v5, v[18:19], v[22:23] offset0:56 offset1:134
	;; [unrolled: 1-line block ×5, first 2 shown]
	ds_write_b64 v118, v[8:9] offset:7488
	s_waitcnt lgkmcnt(0)
	s_barrier
	buffer_gl0_inv
	ds_read2_b64 v[6:9], v118 offset1:78
	ds_read2_b64 v[10:13], v118 offset0:156 offset1:234
	v_mad_u64_u32 v[14:15], null, s10, v94, 0
	v_mad_u64_u32 v[18:19], null, s8, v117, 0
	s_waitcnt lgkmcnt(1)
	v_mul_f32_e32 v0, v108, v7
	v_mul_f32_e32 v1, v108, v6
	;; [unrolled: 1-line block ×4, first 2 shown]
	s_waitcnt lgkmcnt(0)
	v_mul_f32_e32 v22, v102, v11
	v_fmac_f32_e32 v0, v107, v6
	v_fma_f32 v6, v107, v7, -v1
	v_fmac_f32_e32 v20, v99, v8
	v_fma_f32 v8, v99, v9, -v21
	v_fmac_f32_e32 v22, v101, v10
	v_cvt_f64_f32_e32 v[0:1], v0
	v_cvt_f64_f32_e32 v[6:7], v6
	v_mul_f32_e32 v27, v98, v12
	v_cvt_f64_f32_e32 v[22:23], v22
	v_mul_f64 v[0:1], v[0:1], s[0:1]
	v_mul_f64 v[16:17], v[6:7], s[0:1]
	v_cvt_f32_f64_e32 v0, v[0:1]
	v_mad_u64_u32 v[6:7], null, s11, v94, v[15:16]
	v_mul_f32_e32 v15, v102, v10
	v_mov_b32_e32 v7, v19
	v_cvt_f64_f32_e32 v[9:10], v20
	v_cvt_f64_f32_e32 v[20:21], v8
	v_cvt_f32_f64_e32 v1, v[16:17]
	v_fma_f32 v8, v101, v11, -v15
	v_mov_b32_e32 v15, v6
	v_mad_u64_u32 v[24:25], null, s9, v117, v[7:8]
	v_cvt_f64_f32_e32 v[25:26], v8
	ds_read2_b64 v[5:8], v5 offset0:56 offset1:134
	v_lshlrev_b64 v[14:15], 3, v[14:15]
	v_mov_b32_e32 v19, v24
	v_mul_f32_e32 v24, v98, v13
	v_add_co_u32 v11, vcc_lo, s4, v14
	v_add_co_ci_u32_e32 v28, vcc_lo, s5, v15, vcc_lo
	v_lshlrev_b64 v[14:15], 3, v[18:19]
	v_mul_f64 v[16:17], v[9:10], s[0:1]
	v_mul_f64 v[18:19], v[20:21], s[0:1]
	;; [unrolled: 1-line block ×3, first 2 shown]
	v_fmac_f32_e32 v24, v97, v12
	v_fma_f32 v9, v97, v13, -v27
	s_waitcnt lgkmcnt(0)
	v_mul_f32_e32 v10, v110, v6
	v_mul_f64 v[22:23], v[25:26], s[0:1]
	v_mul_f32_e32 v12, v110, v5
	v_cvt_f64_f32_e32 v[24:25], v24
	v_cvt_f64_f32_e32 v[26:27], v9
	v_fmac_f32_e32 v10, v109, v5
	v_add_co_u32 v5, vcc_lo, v11, v14
	v_fma_f32 v9, v109, v6, -v12
	v_add_co_ci_u32_e32 v6, vcc_lo, v28, v15, vcc_lo
	v_cvt_f64_f32_e32 v[13:14], v10
	v_cvt_f64_f32_e32 v[28:29], v9
	ds_read2_b64 v[9:12], v4 offset0:84 offset1:162
	global_store_dwordx2 v[5:6], v[0:1], off
	v_cvt_f32_f64_e32 v0, v[16:17]
	v_cvt_f32_f64_e32 v1, v[18:19]
	v_cvt_f32_f64_e32 v15, v[20:21]
	v_add_co_u32 v4, vcc_lo, v5, s3
	v_add_co_ci_u32_e32 v5, vcc_lo, s2, v6, vcc_lo
	v_cvt_f32_f64_e32 v16, v[22:23]
	v_mul_f32_e32 v6, v106, v7
	v_mul_f64 v[17:18], v[24:25], s[0:1]
	v_mul_f32_e32 v25, v106, v8
	v_mul_f64 v[19:20], v[26:27], s[0:1]
	v_add_co_u32 v23, vcc_lo, v4, s3
	v_add_co_ci_u32_e32 v24, vcc_lo, s2, v5, vcc_lo
	v_fmac_f32_e32 v25, v105, v7
	v_fma_f32 v6, v105, v8, -v6
	s_waitcnt lgkmcnt(0)
	v_mul_f32_e32 v7, v104, v10
	v_mul_f32_e32 v27, v104, v9
	v_mul_f64 v[21:22], v[28:29], s[0:1]
	v_cvt_f64_f32_e32 v[25:26], v25
	v_mul_f32_e32 v29, v96, v11
	v_fmac_f32_e32 v7, v103, v9
	v_fma_f32 v8, v103, v10, -v27
	global_store_dwordx2 v[4:5], v[0:1], off
	v_cvt_f64_f32_e32 v[0:1], v6
	ds_read2_b64 v[3:6], v3 offset0:112 offset1:190
	v_mul_f64 v[13:14], v[13:14], s[0:1]
	global_store_dwordx2 v[23:24], v[15:16], off
	v_cvt_f64_f32_e32 v[15:16], v7
	v_cvt_f64_f32_e32 v[27:28], v8
	ds_read2_b64 v[7:10], v2 offset0:12 offset1:90
	v_mul_f32_e32 v2, v96, v12
	v_fma_f32 v29, v95, v12, -v29
	v_cvt_f32_f64_e32 v17, v[17:18]
	v_cvt_f32_f64_e32 v18, v[19:20]
	v_add_co_u32 v19, vcc_lo, v23, s3
	v_fmac_f32_e32 v2, v95, v11
	v_add_co_ci_u32_e32 v20, vcc_lo, s2, v24, vcc_lo
	v_cvt_f64_f32_e32 v[29:30], v29
	v_mul_f64 v[23:24], v[25:26], s[0:1]
	v_cvt_f64_f32_e32 v[25:26], v2
	s_waitcnt lgkmcnt(1)
	v_mul_f32_e32 v33, v87, v5
	v_mul_f32_e32 v32, v87, v6
	;; [unrolled: 1-line block ×4, first 2 shown]
	v_mul_f64 v[0:1], v[0:1], s[0:1]
	v_mul_f64 v[11:12], v[15:16], s[0:1]
	;; [unrolled: 1-line block ×3, first 2 shown]
	ds_read_b64 v[27:28], v118 offset:7488
	v_fma_f32 v6, v86, v6, -v33
	s_waitcnt lgkmcnt(1)
	v_mul_f32_e32 v35, v85, v8
	v_mul_f32_e32 v37, v91, v10
	v_fmac_f32_e32 v2, v88, v3
	v_fma_f32 v4, v88, v4, -v31
	v_cvt_f64_f32_e32 v[33:34], v6
	v_mul_f32_e32 v6, v85, v7
	v_fmac_f32_e32 v35, v84, v7
	v_mul_f32_e32 v7, v91, v9
	v_cvt_f32_f64_e32 v13, v[13:14]
	v_cvt_f32_f64_e32 v14, v[21:22]
	v_fmac_f32_e32 v32, v86, v5
	v_fma_f32 v6, v84, v8, -v6
	v_fmac_f32_e32 v37, v90, v9
	v_fma_f32 v10, v90, v10, -v7
	v_cvt_f64_f32_e32 v[2:3], v2
	v_cvt_f64_f32_e32 v[4:5], v4
	;; [unrolled: 1-line block ×4, first 2 shown]
	s_waitcnt lgkmcnt(0)
	v_mul_f32_e32 v38, v93, v28
	v_mul_f32_e32 v39, v93, v27
	v_cvt_f64_f32_e32 v[6:7], v6
	v_cvt_f64_f32_e32 v[8:9], v37
	v_add_co_u32 v21, vcc_lo, v19, s3
	v_fmac_f32_e32 v38, v92, v27
	v_fma_f32 v39, v92, v28, -v39
	v_cvt_f64_f32_e32 v[27:28], v10
	v_add_co_ci_u32_e32 v22, vcc_lo, s2, v20, vcc_lo
	v_cvt_f64_f32_e32 v[37:38], v38
	v_cvt_f64_f32_e32 v[39:40], v39
	global_store_dwordx2 v[19:20], v[17:18], off
	global_store_dwordx2 v[21:22], v[13:14], off
	v_cvt_f32_f64_e32 v14, v[0:1]
	v_mul_f64 v[0:1], v[25:26], s[0:1]
	v_mul_f64 v[17:18], v[29:30], s[0:1]
	v_add_co_u32 v19, vcc_lo, v21, s3
	v_mul_f64 v[2:3], v[2:3], s[0:1]
	v_mul_f64 v[4:5], v[4:5], s[0:1]
	v_add_co_ci_u32_e32 v20, vcc_lo, s2, v22, vcc_lo
	v_cvt_f32_f64_e32 v10, v[11:12]
	v_cvt_f32_f64_e32 v11, v[15:16]
	v_mul_f64 v[15:16], v[31:32], s[0:1]
	v_mul_f64 v[21:22], v[33:34], s[0:1]
	v_cvt_f32_f64_e32 v13, v[23:24]
	v_mul_f64 v[23:24], v[35:36], s[0:1]
	v_mul_f64 v[6:7], v[6:7], s[0:1]
	v_mul_f64 v[8:9], v[8:9], s[0:1]
	v_mul_f64 v[25:26], v[27:28], s[0:1]
	v_add_co_u32 v31, vcc_lo, v19, s3
	v_mul_f64 v[27:28], v[37:38], s[0:1]
	v_mul_f64 v[29:30], v[39:40], s[0:1]
	v_add_co_ci_u32_e32 v32, vcc_lo, s2, v20, vcc_lo
	v_cvt_f32_f64_e32 v0, v[0:1]
	v_cvt_f32_f64_e32 v1, v[17:18]
	v_add_co_u32 v17, vcc_lo, v31, s3
	v_add_co_ci_u32_e32 v18, vcc_lo, s2, v32, vcc_lo
	v_cvt_f32_f64_e32 v2, v[2:3]
	v_cvt_f32_f64_e32 v3, v[4:5]
	v_add_co_u32 v4, vcc_lo, v17, s3
	v_add_co_ci_u32_e32 v5, vcc_lo, s2, v18, vcc_lo
	v_cvt_f32_f64_e32 v15, v[15:16]
	v_cvt_f32_f64_e32 v16, v[21:22]
	;; [unrolled: 1-line block ×8, first 2 shown]
	v_add_co_u32 v23, vcc_lo, v4, s3
	v_add_co_ci_u32_e32 v24, vcc_lo, s2, v5, vcc_lo
	global_store_dwordx2 v[19:20], v[13:14], off
	v_add_co_u32 v12, vcc_lo, v23, s3
	v_add_co_ci_u32_e32 v13, vcc_lo, s2, v24, vcc_lo
	global_store_dwordx2 v[31:32], v[10:11], off
	;; [unrolled: 3-line block ×4, first 2 shown]
	global_store_dwordx2 v[23:24], v[15:16], off
	global_store_dwordx2 v[12:13], v[21:22], off
	;; [unrolled: 1-line block ×4, first 2 shown]
.LBB0_10:
	s_endpgm
	.section	.rodata,"a",@progbits
	.p2align	6, 0x0
	.amdhsa_kernel bluestein_single_back_len1014_dim1_sp_op_CI_CI
		.amdhsa_group_segment_fixed_size 16224
		.amdhsa_private_segment_fixed_size 0
		.amdhsa_kernarg_size 104
		.amdhsa_user_sgpr_count 6
		.amdhsa_user_sgpr_private_segment_buffer 1
		.amdhsa_user_sgpr_dispatch_ptr 0
		.amdhsa_user_sgpr_queue_ptr 0
		.amdhsa_user_sgpr_kernarg_segment_ptr 1
		.amdhsa_user_sgpr_dispatch_id 0
		.amdhsa_user_sgpr_flat_scratch_init 0
		.amdhsa_user_sgpr_private_segment_size 0
		.amdhsa_wavefront_size32 1
		.amdhsa_uses_dynamic_stack 0
		.amdhsa_system_sgpr_private_segment_wavefront_offset 0
		.amdhsa_system_sgpr_workgroup_id_x 1
		.amdhsa_system_sgpr_workgroup_id_y 0
		.amdhsa_system_sgpr_workgroup_id_z 0
		.amdhsa_system_sgpr_workgroup_info 0
		.amdhsa_system_vgpr_workitem_id 0
		.amdhsa_next_free_vgpr 246
		.amdhsa_next_free_sgpr 20
		.amdhsa_reserve_vcc 1
		.amdhsa_reserve_flat_scratch 0
		.amdhsa_float_round_mode_32 0
		.amdhsa_float_round_mode_16_64 0
		.amdhsa_float_denorm_mode_32 3
		.amdhsa_float_denorm_mode_16_64 3
		.amdhsa_dx10_clamp 1
		.amdhsa_ieee_mode 1
		.amdhsa_fp16_overflow 0
		.amdhsa_workgroup_processor_mode 1
		.amdhsa_memory_ordered 1
		.amdhsa_forward_progress 0
		.amdhsa_shared_vgpr_count 0
		.amdhsa_exception_fp_ieee_invalid_op 0
		.amdhsa_exception_fp_denorm_src 0
		.amdhsa_exception_fp_ieee_div_zero 0
		.amdhsa_exception_fp_ieee_overflow 0
		.amdhsa_exception_fp_ieee_underflow 0
		.amdhsa_exception_fp_ieee_inexact 0
		.amdhsa_exception_int_div_zero 0
	.end_amdhsa_kernel
	.text
.Lfunc_end0:
	.size	bluestein_single_back_len1014_dim1_sp_op_CI_CI, .Lfunc_end0-bluestein_single_back_len1014_dim1_sp_op_CI_CI
                                        ; -- End function
	.section	.AMDGPU.csdata,"",@progbits
; Kernel info:
; codeLenInByte = 17848
; NumSgprs: 22
; NumVgprs: 246
; ScratchSize: 0
; MemoryBound: 0
; FloatMode: 240
; IeeeMode: 1
; LDSByteSize: 16224 bytes/workgroup (compile time only)
; SGPRBlocks: 2
; VGPRBlocks: 30
; NumSGPRsForWavesPerEU: 22
; NumVGPRsForWavesPerEU: 246
; Occupancy: 4
; WaveLimiterHint : 1
; COMPUTE_PGM_RSRC2:SCRATCH_EN: 0
; COMPUTE_PGM_RSRC2:USER_SGPR: 6
; COMPUTE_PGM_RSRC2:TRAP_HANDLER: 0
; COMPUTE_PGM_RSRC2:TGID_X_EN: 1
; COMPUTE_PGM_RSRC2:TGID_Y_EN: 0
; COMPUTE_PGM_RSRC2:TGID_Z_EN: 0
; COMPUTE_PGM_RSRC2:TIDIG_COMP_CNT: 0
	.text
	.p2alignl 6, 3214868480
	.fill 48, 4, 3214868480
	.type	__hip_cuid_15bf6b4deec59e3e,@object ; @__hip_cuid_15bf6b4deec59e3e
	.section	.bss,"aw",@nobits
	.globl	__hip_cuid_15bf6b4deec59e3e
__hip_cuid_15bf6b4deec59e3e:
	.byte	0                               ; 0x0
	.size	__hip_cuid_15bf6b4deec59e3e, 1

	.ident	"AMD clang version 19.0.0git (https://github.com/RadeonOpenCompute/llvm-project roc-6.4.0 25133 c7fe45cf4b819c5991fe208aaa96edf142730f1d)"
	.section	".note.GNU-stack","",@progbits
	.addrsig
	.addrsig_sym __hip_cuid_15bf6b4deec59e3e
	.amdgpu_metadata
---
amdhsa.kernels:
  - .args:
      - .actual_access:  read_only
        .address_space:  global
        .offset:         0
        .size:           8
        .value_kind:     global_buffer
      - .actual_access:  read_only
        .address_space:  global
        .offset:         8
        .size:           8
        .value_kind:     global_buffer
      - .actual_access:  read_only
        .address_space:  global
        .offset:         16
        .size:           8
        .value_kind:     global_buffer
      - .actual_access:  read_only
        .address_space:  global
        .offset:         24
        .size:           8
        .value_kind:     global_buffer
      - .actual_access:  read_only
        .address_space:  global
        .offset:         32
        .size:           8
        .value_kind:     global_buffer
      - .offset:         40
        .size:           8
        .value_kind:     by_value
      - .address_space:  global
        .offset:         48
        .size:           8
        .value_kind:     global_buffer
      - .address_space:  global
        .offset:         56
        .size:           8
        .value_kind:     global_buffer
      - .address_space:  global
        .offset:         64
        .size:           8
        .value_kind:     global_buffer
      - .address_space:  global
        .offset:         72
        .size:           8
        .value_kind:     global_buffer
      - .offset:         80
        .size:           4
        .value_kind:     by_value
      - .address_space:  global
        .offset:         88
        .size:           8
        .value_kind:     global_buffer
      - .address_space:  global
        .offset:         96
        .size:           8
        .value_kind:     global_buffer
    .group_segment_fixed_size: 16224
    .kernarg_segment_align: 8
    .kernarg_segment_size: 104
    .language:       OpenCL C
    .language_version:
      - 2
      - 0
    .max_flat_workgroup_size: 156
    .name:           bluestein_single_back_len1014_dim1_sp_op_CI_CI
    .private_segment_fixed_size: 0
    .sgpr_count:     22
    .sgpr_spill_count: 0
    .symbol:         bluestein_single_back_len1014_dim1_sp_op_CI_CI.kd
    .uniform_work_group_size: 1
    .uses_dynamic_stack: false
    .vgpr_count:     246
    .vgpr_spill_count: 0
    .wavefront_size: 32
    .workgroup_processor_mode: 1
amdhsa.target:   amdgcn-amd-amdhsa--gfx1030
amdhsa.version:
  - 1
  - 2
...

	.end_amdgpu_metadata
